;; amdgpu-corpus repo=ROCm/rocFFT kind=compiled arch=gfx1030 opt=O3
	.text
	.amdgcn_target "amdgcn-amd-amdhsa--gfx1030"
	.amdhsa_code_object_version 6
	.protected	bluestein_single_fwd_len405_dim1_sp_op_CI_CI ; -- Begin function bluestein_single_fwd_len405_dim1_sp_op_CI_CI
	.globl	bluestein_single_fwd_len405_dim1_sp_op_CI_CI
	.p2align	8
	.type	bluestein_single_fwd_len405_dim1_sp_op_CI_CI,@function
bluestein_single_fwd_len405_dim1_sp_op_CI_CI: ; @bluestein_single_fwd_len405_dim1_sp_op_CI_CI
; %bb.0:
	s_load_dwordx4 s[16:19], s[4:5], 0x28
	v_mul_u32_u24_e32 v1, 0x97c, v0
	v_mov_b32_e32 v123, 0
	s_mov_b32 s0, exec_lo
	v_lshrrev_b32_e32 v31, 16, v1
	v_lshl_add_u32 v122, s6, 2, v31
	s_waitcnt lgkmcnt(0)
	v_cmpx_gt_u64_e64 s[16:17], v[122:123]
	s_cbranch_execz .LBB0_2
; %bb.1:
	s_clause 0x1
	s_load_dwordx4 s[8:11], s[4:5], 0x18
	s_load_dwordx4 s[0:3], s[4:5], 0x0
	v_mul_lo_u16 v1, v31, 27
	v_and_b32_e32 v31, 3, v31
	v_mov_b32_e32 v44, 4
	v_sub_nc_u16 v62, v0, v1
	v_mul_u32_u24_e32 v31, 0x195, v31
	v_and_b32_e32 v127, 0xffff, v62
	v_mul_lo_u16 v32, v62, 5
	v_and_b32_e32 v33, 0xff, v62
	v_lshlrev_b32_e32 v63, 3, v31
	v_lshlrev_b32_e32 v30, 3, v127
	v_and_b32_e32 v31, 0xffff, v32
	v_add_co_u32 v72, null, 0x51, v127
	s_waitcnt lgkmcnt(0)
	s_load_dwordx4 s[12:15], s[8:9], 0x0
	s_clause 0x4
	global_load_dwordx2 v[92:93], v30, s[0:1] offset:648
	global_load_dwordx2 v[94:95], v30, s[0:1] offset:1296
	;; [unrolled: 1-line block ×3, first 2 shown]
	global_load_dwordx2 v[100:101], v30, s[0:1]
	global_load_dwordx2 v[98:99], v30, s[0:1] offset:216
	v_mul_lo_u16 v32, 0xcd, v33
	v_add_co_u32 v64, null, v127, 54
	v_add_nc_u32_e32 v128, v63, v30
	v_and_b32_e32 v42, 0xff, v72
	v_lshrrev_b16 v36, 10, v32
	v_and_b32_e32 v38, 0xff, v64
	v_lshl_add_u32 v130, v31, 3, v63
	v_mul_u32_u24_e32 v31, 5, v64
	v_mul_lo_u16 v34, 0xcd, v42
	v_add_nc_u32_e32 v129, 0x800, v128
	v_mul_lo_u16 v33, 0xcd, v38
	v_add_co_u32 v73, null, 0x6c, v127
	v_lshrrev_b16 v47, 10, v34
	s_waitcnt lgkmcnt(0)
	v_mad_u64_u32 v[0:1], null, s14, v122, 0
	v_mad_u64_u32 v[2:3], null, s12, v127, 0
	s_mul_i32 s7, s13, 0x288
	s_mul_hi_u32 s8, s12, 0x288
	s_mul_i32 s6, s12, 0x288
	s_add_i32 s7, s8, s7
	v_add_co_u32 v82, s8, s0, v30
	v_mad_u64_u32 v[4:5], null, s15, v122, v[1:2]
	v_add_co_ci_u32_e64 v83, null, s1, 0, s8
	s_mul_i32 s8, s13, 0xfffff6b8
	v_lshl_add_u32 v132, v31, 3, v63
	s_sub_i32 s8, s8, s12
	v_lshrrev_b16 v46, 10, v33
	v_mad_u64_u32 v[5:6], null, s13, v127, v[3:4]
	v_mov_b32_e32 v1, v4
	v_and_b32_e32 v41, 0xff, v73
	v_lshlrev_b64 v[0:1], 3, v[0:1]
	v_mov_b32_e32 v3, v5
	v_mul_lo_u16 v43, 0xcd, v41
	v_lshlrev_b64 v[2:3], 3, v[2:3]
	v_add_co_u32 v0, vcc_lo, s18, v0
	v_add_co_ci_u32_e32 v1, vcc_lo, s19, v1, vcc_lo
	v_add_co_u32 v0, vcc_lo, v0, v2
	v_add_co_ci_u32_e32 v1, vcc_lo, v1, v3, vcc_lo
	;; [unrolled: 2-line block ×3, first 2 shown]
	global_load_dwordx2 v[0:1], v[0:1], off
	v_add_co_u32 v6, vcc_lo, v2, s6
	v_add_co_ci_u32_e32 v7, vcc_lo, s7, v3, vcc_lo
	s_clause 0x1
	global_load_dwordx2 v[4:5], v[2:3], off
	global_load_dwordx2 v[2:3], v[6:7], off
	v_add_co_u32 v8, vcc_lo, v6, s6
	v_add_co_ci_u32_e32 v9, vcc_lo, s7, v7, vcc_lo
	v_add_co_u32 v10, vcc_lo, v8, s6
	v_add_co_ci_u32_e32 v11, vcc_lo, s7, v9, vcc_lo
	;; [unrolled: 2-line block ×3, first 2 shown]
	v_mad_u64_u32 v[12:13], null, 0xfffff6b8, s12, v[10:11]
	global_load_dwordx2 v[102:103], v[80:81], off offset:544
	s_clause 0x1
	global_load_dwordx2 v[8:9], v[8:9], off
	global_load_dwordx2 v[6:7], v[10:11], off
	v_add_nc_u32_e32 v13, s8, v13
	v_add_co_u32 v14, vcc_lo, v12, s6
	v_add_co_ci_u32_e32 v15, vcc_lo, s7, v13, vcc_lo
	v_add_co_u32 v16, vcc_lo, v14, s6
	global_load_dwordx2 v[10:11], v[12:13], off
	v_add_co_ci_u32_e32 v17, vcc_lo, s7, v15, vcc_lo
	v_add_co_u32 v18, vcc_lo, v16, s6
	s_clause 0x2
	global_load_dwordx2 v[104:105], v30, s[0:1] offset:864
	global_load_dwordx2 v[106:107], v30, s[0:1] offset:1512
	;; [unrolled: 1-line block ×3, first 2 shown]
	v_add_co_ci_u32_e32 v19, vcc_lo, s7, v17, vcc_lo
	v_add_co_u32 v24, vcc_lo, v18, s6
	global_load_dwordx2 v[110:111], v30, s[0:1] offset:1080
	global_load_dwordx2 v[12:13], v[14:15], off
	s_clause 0x1
	global_load_dwordx2 v[112:113], v30, s[0:1] offset:1728
	global_load_dwordx2 v[114:115], v[80:81], off offset:112
	global_load_dwordx2 v[22:23], v[16:17], off
	global_load_dwordx2 v[116:117], v[80:81], off offset:760
	global_load_dwordx2 v[20:21], v[18:19], off
	v_add_co_ci_u32_e32 v25, vcc_lo, s7, v19, vcc_lo
	v_add_co_u32 v65, s0, v127, 27
	v_add_co_ci_u32_e64 v40, null, 0, 0, s0
	v_mad_u64_u32 v[26:27], null, 0xfffff6b8, s12, v[24:25]
	global_load_dwordx2 v[18:19], v[24:25], off
	v_mul_u32_u24_e32 v30, 5, v65
	v_and_b32_e32 v37, 0xff, v65
	v_add_nc_u32_e32 v27, s8, v27
	v_add_co_u32 v16, vcc_lo, v26, s6
	v_lshl_add_u32 v131, v30, 3, v63
	v_mul_lo_u16 v30, v36, 5
	v_add_co_ci_u32_e32 v17, vcc_lo, s7, v27, vcc_lo
	v_add_co_u32 v24, vcc_lo, v16, s6
	global_load_dwordx2 v[14:15], v[26:27], off
	v_add_co_ci_u32_e32 v25, vcc_lo, s7, v17, vcc_lo
	v_add_co_u32 v26, vcc_lo, v24, s6
	global_load_dwordx2 v[16:17], v[16:17], off
	;; [unrolled: 3-line block ×3, first 2 shown]
	v_add_co_ci_u32_e32 v29, vcc_lo, s7, v27, vcc_lo
	global_load_dwordx2 v[118:119], v[80:81], off offset:328
	global_load_dwordx2 v[26:27], v[26:27], off
	global_load_dwordx2 v[120:121], v[80:81], off offset:976
	global_load_dwordx2 v[28:29], v[28:29], off
	v_mul_lo_u16 v32, 0xcd, v37
	v_sub_nc_u16 v39, v62, v30
	s_load_dwordx4 s[8:11], s[10:11], 0x0
	v_cmp_gt_u16_e32 vcc_lo, 15, v62
	v_lshrrev_b16 v45, 10, v32
	v_lshlrev_b16 v48, 1, v39
	s_waitcnt vmcnt(24)
	v_mul_f32_e32 v30, v1, v101
	v_mul_f32_e32 v31, v0, v101
	v_fmac_f32_e32 v30, v0, v100
	s_waitcnt vmcnt(23)
	v_mul_f32_e32 v32, v5, v93
	s_waitcnt vmcnt(22)
	v_mul_f32_e32 v34, v3, v95
	v_mul_f32_e32 v33, v4, v93
	;; [unrolled: 1-line block ×3, first 2 shown]
	v_fma_f32 v31, v1, v100, -v31
	v_fmac_f32_e32 v32, v4, v92
	v_fmac_f32_e32 v34, v2, v94
	v_fma_f32 v33, v5, v92, -v33
	v_fma_f32 v35, v3, v94, -v35
	ds_write_b64 v128, v[32:33] offset:648
	ds_write_b64 v128, v[34:35] offset:1296
	s_waitcnt vmcnt(20)
	v_mul_f32_e32 v0, v9, v97
	v_mul_f32_e32 v2, v8, v97
	s_waitcnt vmcnt(19)
	v_mul_f32_e32 v3, v6, v103
	v_fmac_f32_e32 v0, v8, v96
	v_fma_f32 v1, v9, v96, -v2
	v_mul_f32_e32 v2, v7, v103
	v_fma_f32 v3, v7, v102, -v3
	ds_write_b64 v128, v[0:1] offset:1944
	v_fmac_f32_e32 v2, v6, v102
	s_waitcnt vmcnt(18)
	v_mul_f32_e32 v4, v11, v99
	v_mul_f32_e32 v5, v10, v99
	ds_write_b64 v128, v[2:3] offset:2592
	s_waitcnt vmcnt(13)
	v_mul_f32_e32 v0, v13, v105
	v_mul_f32_e32 v1, v12, v105
	v_fmac_f32_e32 v4, v10, v98
	v_fma_f32 v5, v11, v98, -v5
	s_waitcnt vmcnt(10)
	v_mul_f32_e32 v2, v23, v107
	v_fmac_f32_e32 v0, v12, v104
	v_fma_f32 v1, v13, v104, -v1
	v_mul_f32_e32 v3, v22, v107
	ds_write2_b64 v128, v[30:31], v[4:5] offset1:27
	s_waitcnt vmcnt(8)
	v_mul_f32_e32 v4, v21, v115
	v_mul_f32_e32 v5, v20, v115
	v_fmac_f32_e32 v2, v22, v106
	v_fma_f32 v3, v23, v106, -v3
	v_mul_lo_u16 v22, v47, 5
	s_waitcnt vmcnt(7)
	v_mul_f32_e32 v6, v19, v117
	v_mul_f32_e32 v7, v18, v117
	v_fmac_f32_e32 v4, v20, v114
	v_fma_f32 v5, v21, v114, -v5
	v_mul_lo_u16 v20, v45, 5
	v_mul_lo_u16 v21, v46, 5
	v_and_b32_e32 v23, 0xfe, v48
	v_fmac_f32_e32 v6, v18, v116
	v_fma_f32 v7, v19, v116, -v7
	v_sub_nc_u16 v31, v65, v20
	v_sub_nc_u16 v33, v64, v21
	;; [unrolled: 1-line block ×3, first 2 shown]
	v_lshlrev_b32_e32 v35, 3, v23
	v_lshrrev_b16 v30, 10, v43
	v_lshlrev_b32_sdwa v43, v44, v31 dst_sel:DWORD dst_unused:UNUSED_PAD src0_sel:DWORD src1_sel:BYTE_0
	s_waitcnt vmcnt(6)
	v_mul_f32_e32 v8, v15, v109
	v_mul_f32_e32 v9, v14, v109
	v_mul_lo_u16 v32, v30, 5
	s_waitcnt vmcnt(5)
	v_mul_f32_e32 v10, v17, v111
	v_mul_f32_e32 v11, v16, v111
	v_fmac_f32_e32 v8, v14, v108
	v_fma_f32 v9, v15, v108, -v9
	s_waitcnt vmcnt(4)
	v_mul_f32_e32 v12, v25, v113
	v_mul_f32_e32 v13, v24, v113
	s_waitcnt vmcnt(2)
	v_mul_f32_e32 v14, v27, v119
	v_mul_f32_e32 v15, v26, v119
	v_fmac_f32_e32 v10, v16, v110
	v_fma_f32 v11, v17, v110, -v11
	s_waitcnt vmcnt(0)
	v_mul_f32_e32 v16, v29, v121
	v_mul_f32_e32 v17, v28, v121
	v_fmac_f32_e32 v12, v24, v112
	v_fma_f32 v13, v25, v112, -v13
	v_fmac_f32_e32 v14, v26, v118
	v_fma_f32 v15, v27, v118, -v15
	;; [unrolled: 2-line block ×3, first 2 shown]
	ds_write_b64 v128, v[8:9] offset:432
	ds_write2_b64 v128, v[0:1], v[10:11] offset0:108 offset1:135
	ds_write2_b64 v128, v[2:3], v[12:13] offset0:189 offset1:216
	;; [unrolled: 1-line block ×4, first 2 shown]
	s_waitcnt lgkmcnt(0)
	s_barrier
	buffer_gl0_inv
	ds_read2_b64 v[0:3], v128 offset1:27
	ds_read2_b64 v[4:7], v128 offset0:54 offset1:81
	ds_read2_b64 v[8:11], v128 offset0:162 offset1:189
	ds_read2_b64 v[12:15], v128 offset0:216 offset1:243
	ds_read2_b64 v[16:19], v129 offset0:68 offset1:95
	ds_read2_b64 v[20:23], v128 offset0:108 offset1:135
	ds_read2_b64 v[24:27], v129 offset0:14 offset1:41
	ds_read_b64 v[28:29], v128 offset:3024
	s_waitcnt lgkmcnt(0)
	s_barrier
	buffer_gl0_inv
	v_add_f32_e32 v48, v0, v6
	v_sub_f32_e32 v52, v6, v8
	v_add_f32_e32 v49, v8, v14
	v_add_f32_e32 v58, v9, v15
	v_sub_f32_e32 v53, v16, v14
	v_add_f32_e32 v54, v6, v16
	v_add_f32_e32 v57, v1, v7
	;; [unrolled: 1-line block ×5, first 2 shown]
	v_sub_f32_e32 v74, v21, v19
	v_add_f32_e32 v78, v3, v21
	v_add_f32_e32 v79, v20, v18
	v_sub_f32_e32 v87, v21, v11
	v_sub_f32_e32 v88, v11, v21
	v_add_f32_e32 v21, v21, v19
	v_sub_f32_e32 v50, v7, v17
	v_sub_f32_e32 v55, v8, v6
	;; [unrolled: 1-line block ×7, first 2 shown]
	v_add_f32_e32 v70, v2, v20
	v_add_f32_e32 v123, v4, v22
	;; [unrolled: 1-line block ×4, first 2 shown]
	v_sub_f32_e32 v133, v22, v12
	v_sub_f32_e32 v134, v12, v22
	v_add_f32_e32 v135, v13, v27
	v_add_f32_e32 v140, v22, v28
	v_sub_f32_e32 v141, v22, v28
	v_add_f32_e32 v22, v23, v29
	v_fma_f32 v6, -0.5, v49, v0
	v_fma_f32 v7, -0.5, v58, v1
	v_sub_f32_e32 v51, v9, v15
	v_sub_f32_e32 v60, v8, v14
	v_add_f32_e32 v48, v48, v8
	v_add_f32_e32 v52, v52, v53
	;; [unrolled: 1-line block ×3, first 2 shown]
	v_fma_f32 v0, -0.5, v54, v0
	v_fma_f32 v1, -0.5, v67, v1
	v_sub_f32_e32 v69, v15, v17
	v_sub_f32_e32 v76, v20, v10
	;; [unrolled: 1-line block ×5, first 2 shown]
	v_fma_f32 v8, -0.5, v71, v2
	v_fma_f32 v9, -0.5, v85, v3
	v_sub_f32_e32 v75, v11, v25
	v_sub_f32_e32 v86, v10, v24
	;; [unrolled: 1-line block ×6, first 2 shown]
	v_fma_f32 v2, -0.5, v79, v2
	v_fmac_f32_e32 v3, -0.5, v21
	v_sub_f32_e32 v126, v13, v27
	v_sub_f32_e32 v136, v12, v26
	v_add_f32_e32 v49, v55, v56
	v_add_f32_e32 v54, v61, v66
	;; [unrolled: 1-line block ×6, first 2 shown]
	v_fma_f32 v10, -0.5, v125, v4
	v_fma_f32 v11, -0.5, v135, v5
	v_fmac_f32_e32 v5, -0.5, v22
	v_fma_f32 v4, -0.5, v140, v4
	v_fmamk_f32 v12, v50, 0x3f737871, v6
	v_fmamk_f32 v13, v59, 0xbf737871, v7
	v_add_f32_e32 v48, v48, v14
	v_add_f32_e32 v53, v53, v15
	v_fmamk_f32 v14, v51, 0xbf737871, v0
	v_fmac_f32_e32 v0, 0x3f737871, v51
	v_fmamk_f32 v15, v60, 0x3f737871, v1
	v_fmac_f32_e32 v1, 0xbf737871, v60
	v_fmac_f32_e32 v6, 0xbf737871, v50
	;; [unrolled: 1-line block ×3, first 2 shown]
	v_sub_f32_e32 v77, v18, v24
	v_add_f32_e32 v55, v68, v69
	v_add_f32_e32 v68, v87, v20
	v_fmamk_f32 v20, v74, 0x3f737871, v8
	v_fmamk_f32 v21, v90, 0xbf737871, v9
	v_sub_f32_e32 v89, v24, v18
	v_sub_f32_e32 v91, v25, v19
	v_add_f32_e32 v70, v133, v23
	v_fmac_f32_e32 v8, 0xbf737871, v74
	v_fmamk_f32 v22, v75, 0xbf737871, v2
	v_fmac_f32_e32 v2, 0x3f737871, v75
	v_fmamk_f32 v23, v86, 0x3f737871, v3
	v_fmac_f32_e32 v3, 0xbf737871, v86
	v_sub_f32_e32 v142, v26, v28
	v_sub_f32_e32 v143, v29, v27
	;; [unrolled: 1-line block ×3, first 2 shown]
	v_add_f32_e32 v56, v56, v24
	v_add_f32_e32 v57, v57, v25
	;; [unrolled: 1-line block ×4, first 2 shown]
	v_fmac_f32_e32 v9, 0x3f737871, v90
	v_fmamk_f32 v24, v139, 0x3f737871, v10
	v_fmac_f32_e32 v10, 0xbf737871, v139
	v_fmamk_f32 v26, v126, 0xbf737871, v4
	;; [unrolled: 2-line block ×4, first 2 shown]
	v_fmac_f32_e32 v5, 0xbf737871, v136
	v_fmac_f32_e32 v12, 0x3f167918, v51
	;; [unrolled: 1-line block ×9, first 2 shown]
	v_add_f32_e32 v66, v76, v77
	v_fmac_f32_e32 v20, 0x3f167918, v75
	v_fmac_f32_e32 v21, 0xbf167918, v86
	v_add_f32_e32 v67, v84, v89
	v_add_f32_e32 v69, v88, v91
	v_fmac_f32_e32 v8, 0xbf167918, v75
	v_fmac_f32_e32 v22, 0x3f167918, v74
	;; [unrolled: 1-line block ×5, first 2 shown]
	v_add_f32_e32 v71, v134, v142
	v_add_f32_e32 v76, v137, v143
	;; [unrolled: 1-line block ×5, first 2 shown]
	v_fmac_f32_e32 v9, 0x3f167918, v86
	v_fmac_f32_e32 v24, 0x3f167918, v126
	;; [unrolled: 1-line block ×17, first 2 shown]
	v_add_f32_e32 v18, v56, v18
	v_add_f32_e32 v19, v57, v19
	v_fmac_f32_e32 v20, 0x3e9e377a, v66
	v_fmac_f32_e32 v21, 0x3e9e377a, v68
	v_add_f32_e32 v28, v58, v28
	v_fmac_f32_e32 v8, 0x3e9e377a, v66
	v_fmac_f32_e32 v22, 0x3e9e377a, v67
	;; [unrolled: 1-line block ×5, first 2 shown]
	v_add_f32_e32 v29, v61, v29
	v_fmac_f32_e32 v9, 0x3e9e377a, v68
	v_fmac_f32_e32 v24, 0x3e9e377a, v70
	;; [unrolled: 1-line block ×9, first 2 shown]
	ds_write2_b64 v130, v[16:17], v[12:13] offset1:1
	ds_write2_b64 v130, v[14:15], v[0:1] offset0:2 offset1:3
	ds_write_b64 v130, v[6:7] offset:32
	ds_write2_b64 v131, v[18:19], v[20:21] offset1:1
	ds_write2_b64 v131, v[22:23], v[2:3] offset0:2 offset1:3
	ds_write_b64 v131, v[8:9] offset:32
	ds_write2_b64 v132, v[28:29], v[24:25] offset1:1
	ds_write_b64 v132, v[10:11] offset:32
	ds_write2_b64 v132, v[26:27], v[4:5] offset0:2 offset1:3
	v_lshlrev_b32_sdwa v8, v44, v33 dst_sel:DWORD dst_unused:UNUSED_PAD src0_sel:DWORD src1_sel:BYTE_0
	v_sub_nc_u16 v28, v73, v32
	s_waitcnt lgkmcnt(0)
	s_barrier
	buffer_gl0_inv
	s_clause 0x2
	global_load_dwordx4 v[0:3], v35, s[2:3]
	global_load_dwordx4 v[12:15], v8, s[2:3]
	;; [unrolled: 1-line block ×3, first 2 shown]
	v_lshlrev_b32_sdwa v9, v44, v34 dst_sel:DWORD dst_unused:UNUSED_PAD src0_sel:DWORD src1_sel:BYTE_0
	v_lshlrev_b32_sdwa v8, v44, v28 dst_sel:DWORD dst_unused:UNUSED_PAD src0_sel:DWORD src1_sel:BYTE_0
	s_clause 0x1
	global_load_dwordx4 v[16:19], v9, s[2:3]
	global_load_dwordx4 v[8:11], v8, s[2:3]
	v_add_co_u32 v20, s0, v127, -15
	v_add_co_ci_u32_e64 v21, null, 0, -1, s0
	v_mul_lo_u16 v23, 0x89, v37
	v_cndmask_b32_e32 v53, v20, v127, vcc_lo
	v_mul_lo_u16 v24, 0x89, v38
	v_cndmask_b32_e64 v54, v21, 0, vcc_lo
	v_mul_lo_u16 v25, 0x89, v42
	v_mov_b32_e32 v22, 15
	v_mul_lo_u16 v26, 0x89, v41
	v_lshrrev_b16 v43, 11, v23
	v_lshlrev_b64 v[20:21], 4, v[53:54]
	v_lshrrev_b16 v59, 11, v24
	v_lshrrev_b16 v66, 11, v25
	;; [unrolled: 1-line block ×3, first 2 shown]
	v_mul_lo_u16 v24, v45, 15
	v_mul_u32_u24_sdwa v25, v46, v22 dst_sel:DWORD dst_unused:UNUSED_PAD src0_sel:WORD_0 src1_sel:DWORD
	v_add_co_u32 v54, vcc_lo, s2, v20
	v_mad_u16 v20, v36, 15, v39
	v_mul_u32_u24_sdwa v26, v47, v22 dst_sel:DWORD dst_unused:UNUSED_PAD src0_sel:WORD_0 src1_sel:DWORD
	v_mul_u32_u24_sdwa v29, v30, v22 dst_sel:DWORD dst_unused:UNUSED_PAD src0_sel:WORD_0 src1_sel:DWORD
	v_add_co_ci_u32_e32 v55, vcc_lo, s3, v21, vcc_lo
	v_mul_lo_u16 v21, v43, 15
	v_mul_lo_u16 v23, v59, 15
	;; [unrolled: 1-line block ×3, first 2 shown]
	v_and_b32_e32 v20, 0xff, v20
	v_add_nc_u32_sdwa v30, v24, v31 dst_sel:DWORD dst_unused:UNUSED_PAD src0_sel:BYTE_0 src1_sel:BYTE_0
	v_add_nc_u32_sdwa v32, v25, v33 dst_sel:DWORD dst_unused:UNUSED_PAD src0_sel:DWORD src1_sel:BYTE_0
	v_add_nc_u32_sdwa v33, v26, v34 dst_sel:DWORD dst_unused:UNUSED_PAD src0_sel:DWORD src1_sel:BYTE_0
	;; [unrolled: 1-line block ×3, first 2 shown]
	v_sub_nc_u16 v68, v65, v21
	v_sub_nc_u16 v69, v64, v23
	;; [unrolled: 1-line block ×3, first 2 shown]
	v_lshl_add_u32 v133, v20, 3, v63
	ds_read2_b64 v[20:23], v129 offset0:14 offset1:41
	ds_read2_b64 v[24:27], v128 offset0:162 offset1:189
	v_lshl_add_u32 v136, v30, 3, v63
	ds_read2_b64 v[28:31], v129 offset0:68 offset1:95
	v_lshl_add_u32 v137, v32, 3, v63
	v_lshl_add_u32 v135, v33, 3, v63
	;; [unrolled: 1-line block ×3, first 2 shown]
	ds_read2_b64 v[32:35], v128 offset0:216 offset1:243
	ds_read2_b64 v[36:39], v128 offset0:108 offset1:135
	ds_read2_b64 v[45:48], v128 offset1:27
	ds_read_b64 v[56:57], v128 offset:3024
	ds_read2_b64 v[49:52], v128 offset0:54 offset1:81
	v_mul_lo_u16 v58, v67, 15
	v_lshlrev_b32_sdwa v60, v44, v68 dst_sel:DWORD dst_unused:UNUSED_PAD src0_sel:DWORD src1_sel:BYTE_0
	s_waitcnt vmcnt(0) lgkmcnt(0)
	s_barrier
	buffer_gl0_inv
	v_cmp_gt_u16_e32 vcc_lo, 18, v62
	v_mul_lo_u16 v42, 0x6d, v42
	v_mul_lo_u16 v41, 0x6d, v41
	v_lshrrev_b16 v42, 8, v42
	v_mul_f32_e32 v61, v21, v3
	v_mul_f32_e32 v71, v20, v3
	;; [unrolled: 1-line block ×20, first 2 shown]
	v_fma_f32 v20, v20, v2, -v61
	v_fmac_f32_e32 v71, v21, v2
	v_fmac_f32_e32 v77, v25, v4
	;; [unrolled: 1-line block ×3, first 2 shown]
	v_fma_f32 v25, v38, v0, -v123
	v_fma_f32 v61, v22, v6, -v74
	v_fmac_f32_e32 v75, v23, v6
	v_fma_f32 v21, v24, v4, -v76
	v_fma_f32 v22, v26, v12, -v78
	v_fmac_f32_e32 v79, v27, v12
	v_fma_f32 v26, v28, v14, -v84
	v_fmac_f32_e32 v85, v29, v14
	;; [unrolled: 2-line block ×6, first 2 shown]
	v_add_f32_e32 v28, v124, v71
	v_add_f32_e32 v31, v25, v20
	;; [unrolled: 1-line block ×5, first 2 shown]
	v_sub_f32_e32 v39, v25, v20
	v_add_f32_e32 v25, v48, v77
	v_sub_f32_e32 v56, v77, v75
	v_add_f32_e32 v74, v50, v79
	;; [unrolled: 2-line block ×3, first 2 shown]
	v_add_f32_e32 v79, v22, v26
	v_add_f32_e32 v27, v46, v124
	v_sub_f32_e32 v38, v124, v71
	v_add_f32_e32 v34, v47, v21
	v_add_f32_e32 v78, v49, v22
	v_sub_f32_e32 v84, v22, v26
	v_add_f32_e32 v86, v52, v89
	v_sub_f32_e32 v88, v89, v87
	v_add_f32_e32 v89, v89, v87
	v_add_f32_e32 v90, v51, v23
	;; [unrolled: 1-line block ×3, first 2 shown]
	v_sub_f32_e32 v124, v23, v30
	v_add_f32_e32 v125, v24, v32
	v_add_f32_e32 v140, v91, v126
	v_fma_f32 v22, -0.5, v31, v45
	v_fma_f32 v23, -0.5, v28, v46
	v_sub_f32_e32 v57, v21, v61
	v_fma_f32 v47, -0.5, v35, v47
	v_fmac_f32_e32 v48, -0.5, v33
	v_add_f32_e32 v20, v29, v20
	v_fma_f32 v28, -0.5, v79, v49
	v_fma_f32 v29, -0.5, v77, v50
	v_add_f32_e32 v138, v36, v24
	v_add_f32_e32 v139, v37, v91
	v_sub_f32_e32 v91, v91, v126
	v_sub_f32_e32 v141, v24, v32
	v_add_f32_e32 v21, v27, v71
	v_add_f32_e32 v24, v34, v61
	v_fma_f32 v51, -0.5, v123, v51
	v_fmac_f32_e32 v52, -0.5, v89
	v_fma_f32 v36, -0.5, v125, v36
	v_fmac_f32_e32 v37, -0.5, v140
	v_fmamk_f32 v34, v38, 0x3f5db3d7, v22
	v_fmamk_f32 v35, v39, 0xbf5db3d7, v23
	v_fmac_f32_e32 v22, 0xbf5db3d7, v38
	v_fmac_f32_e32 v23, 0x3f5db3d7, v39
	v_add_f32_e32 v25, v25, v75
	v_fmamk_f32 v38, v56, 0x3f5db3d7, v47
	v_fmamk_f32 v39, v57, 0xbf5db3d7, v48
	v_fmac_f32_e32 v47, 0xbf5db3d7, v56
	v_fmac_f32_e32 v48, 0x3f5db3d7, v57
	v_add_f32_e32 v27, v74, v85
	v_add_f32_e32 v26, v78, v26
	v_fmamk_f32 v45, v76, 0x3f5db3d7, v28
	v_fmamk_f32 v46, v84, 0xbf5db3d7, v29
	v_fmac_f32_e32 v28, 0xbf5db3d7, v76
	v_add_f32_e32 v31, v86, v87
	v_add_f32_e32 v30, v90, v30
	;; [unrolled: 1-line block ×4, first 2 shown]
	v_fmac_f32_e32 v29, 0x3f5db3d7, v84
	v_fmamk_f32 v49, v88, 0x3f5db3d7, v51
	v_fmamk_f32 v50, v124, 0xbf5db3d7, v52
	v_fmac_f32_e32 v51, 0xbf5db3d7, v88
	v_fmac_f32_e32 v52, 0x3f5db3d7, v124
	v_fmamk_f32 v56, v91, 0x3f5db3d7, v36
	v_fmac_f32_e32 v36, 0xbf5db3d7, v91
	v_fmamk_f32 v57, v141, 0xbf5db3d7, v37
	v_fmac_f32_e32 v37, 0x3f5db3d7, v141
	ds_write2_b64 v133, v[20:21], v[34:35] offset1:5
	ds_write_b64 v133, v[22:23] offset:80
	ds_write2_b64 v136, v[24:25], v[38:39] offset1:5
	ds_write_b64 v136, v[47:48] offset:80
	;; [unrolled: 2-line block ×5, first 2 shown]
	v_lshlrev_b32_sdwa v28, v44, v69 dst_sel:DWORD dst_unused:UNUSED_PAD src0_sel:DWORD src1_sel:BYTE_0
	v_sub_nc_u16 v45, v73, v58
	s_waitcnt lgkmcnt(0)
	s_barrier
	buffer_gl0_inv
	s_clause 0x2
	global_load_dwordx4 v[20:23], v[54:55], off offset:80
	global_load_dwordx4 v[24:27], v60, s[2:3] offset:80
	global_load_dwordx4 v[28:31], v28, s[2:3] offset:80
	v_lshlrev_b32_sdwa v32, v44, v70 dst_sel:DWORD dst_unused:UNUSED_PAD src0_sel:DWORD src1_sel:BYTE_0
	v_lshlrev_b32_sdwa v36, v44, v45 dst_sel:DWORD dst_unused:UNUSED_PAD src0_sel:DWORD src1_sel:BYTE_0
	s_clause 0x1
	global_load_dwordx4 v[32:35], v32, s[2:3] offset:80
	global_load_dwordx4 v[36:39], v36, s[2:3] offset:80
	v_add_co_u32 v46, s0, 0xffffffee, v127
	v_add_co_ci_u32_e64 v47, null, 0, -1, s0
	v_cmp_lt_u16_e64 s0, 14, v62
	v_cndmask_b32_e32 v60, v46, v65, vcc_lo
	v_sub_nc_u16 v49, v72, v42
	v_cndmask_b32_e32 v61, v47, v40, vcc_lo
	v_mov_b32_e32 v46, 45
	v_cndmask_b32_e64 v48, 0, 45, s0
	s_load_dwordx2 s[0:1], s[4:5], 0x38
	v_lshrrev_b16 v49, 1, v49
	v_add_nc_u32_e32 v47, v53, v48
	v_lshrrev_b16 v48, 8, v41
	v_lshlrev_b64 v[40:41], 4, v[60:61]
	v_lshlrev_b32_e32 v61, 4, v127
	v_lshl_add_u32 v138, v47, 3, v63
	v_sub_nc_u16 v47, v73, v48
	v_add_co_u32 v57, vcc_lo, s2, v40
	v_add_co_ci_u32_e32 v58, vcc_lo, s3, v41, vcc_lo
	v_lshrrev_b16 v40, 1, v47
	v_mul_u32_u24_sdwa v41, v43, v46 dst_sel:DWORD dst_unused:UNUSED_PAD src0_sel:WORD_0 src1_sel:DWORD
	v_and_b32_e32 v47, 0x7f, v49
	v_mul_u32_u24_sdwa v43, v59, v46 dst_sel:DWORD dst_unused:UNUSED_PAD src0_sel:WORD_0 src1_sel:DWORD
	v_mul_u32_u24_sdwa v49, v66, v46 dst_sel:DWORD dst_unused:UNUSED_PAD src0_sel:WORD_0 src1_sel:DWORD
	v_and_b32_e32 v40, 0x7f, v40
	v_add_nc_u32_sdwa v50, v41, v68 dst_sel:DWORD dst_unused:UNUSED_PAD src0_sel:DWORD src1_sel:BYTE_0
	v_add_nc_u16 v41, v47, v42
	v_mul_u32_u24_sdwa v46, v67, v46 dst_sel:DWORD dst_unused:UNUSED_PAD src0_sel:WORD_0 src1_sel:DWORD
	v_add_nc_u32_sdwa v47, v43, v69 dst_sel:DWORD dst_unused:UNUSED_PAD src0_sel:DWORD src1_sel:BYTE_0
	v_add_nc_u16 v48, v40, v48
	v_add_nc_u32_sdwa v49, v49, v70 dst_sel:DWORD dst_unused:UNUSED_PAD src0_sel:DWORD src1_sel:BYTE_0
	v_lshrrev_b16 v88, 5, v41
	v_add_nc_u32_sdwa v53, v46, v45 dst_sel:DWORD dst_unused:UNUSED_PAD src0_sel:DWORD src1_sel:BYTE_0
	ds_read2_b64 v[40:43], v129 offset0:14 offset1:41
	v_lshrrev_b16 v51, 5, v48
	v_lshl_add_u32 v140, v50, 3, v63
	v_mul_lo_u16 v54, v88, 45
	v_lshl_add_u32 v139, v47, 3, v63
	ds_read2_b64 v[45:48], v128 offset0:162 offset1:189
	v_mul_lo_u16 v55, v51, 45
	v_lshl_add_u32 v141, v49, 3, v63
	ds_read2_b64 v[49:52], v129 offset0:68 offset1:95
	v_lshl_add_u32 v142, v53, 3, v63
	v_sub_nc_u16 v89, v72, v54
	v_sub_nc_u16 v59, v73, v55
	ds_read2_b64 v[53:56], v128 offset0:216 offset1:243
	ds_read2_b64 v[66:69], v128 offset0:108 offset1:135
	ds_read2_b64 v[74:77], v128 offset1:27
	ds_read_b64 v[70:71], v128 offset:3024
	ds_read2_b64 v[84:87], v128 offset0:54 offset1:81
	s_waitcnt vmcnt(0) lgkmcnt(0)
	s_barrier
	buffer_gl0_inv
	v_cmp_lt_u16_e32 vcc_lo, 17, v62
	v_lshlrev_b32_e32 v72, 4, v72
	v_cndmask_b32_e64 v62, 0, 0x87, vcc_lo
	v_add_nc_u32_e32 v60, v60, v62
	v_mul_f32_e32 v78, v41, v23
	v_mul_f32_e32 v79, v40, v23
	v_mul_f32_e32 v123, v46, v25
	v_mul_f32_e32 v124, v45, v25
	v_mul_f32_e32 v143, v50, v31
	v_mul_f32_e32 v151, v69, v21
	v_mul_f32_e32 v152, v68, v21
	v_mul_f32_e32 v90, v43, v27
	v_mul_f32_e32 v91, v42, v27
	v_mul_f32_e32 v125, v48, v29
	v_mul_f32_e32 v126, v47, v29
	v_mul_f32_e32 v144, v49, v31
	v_mul_f32_e32 v145, v52, v35
	v_mul_f32_e32 v146, v51, v35
	v_mul_f32_e32 v147, v54, v33
	v_mul_f32_e32 v148, v53, v33
	v_mul_f32_e32 v149, v56, v37
	v_mul_f32_e32 v150, v55, v37
	v_mul_f32_e32 v153, v71, v39
	v_mul_f32_e32 v154, v70, v39
	v_fma_f32 v40, v40, v22, -v78
	v_fmac_f32_e32 v79, v41, v22
	v_fma_f32 v41, v45, v24, -v123
	v_fmac_f32_e32 v124, v46, v24
	;; [unrolled: 2-line block ×3, first 2 shown]
	v_fma_f32 v49, v68, v20, -v151
	v_fma_f32 v42, v42, v26, -v90
	v_fmac_f32_e32 v91, v43, v26
	v_fma_f32 v43, v47, v28, -v125
	v_fmac_f32_e32 v126, v48, v28
	v_fmac_f32_e32 v144, v50, v30
	v_fma_f32 v47, v51, v34, -v145
	v_fmac_f32_e32 v146, v52, v34
	v_fma_f32 v46, v53, v32, -v147
	;; [unrolled: 2-line block ×4, first 2 shown]
	v_fmac_f32_e32 v154, v71, v38
	v_add_f32_e32 v50, v75, v152
	v_add_f32_e32 v51, v152, v79
	;; [unrolled: 1-line block ×4, first 2 shown]
	v_sub_f32_e32 v69, v49, v40
	v_add_f32_e32 v49, v77, v124
	v_add_f32_e32 v55, v124, v91
	;; [unrolled: 1-line block ×3, first 2 shown]
	v_sub_f32_e32 v70, v124, v91
	v_add_f32_e32 v90, v85, v126
	v_sub_f32_e32 v123, v126, v144
	v_add_f32_e32 v124, v126, v144
	v_add_f32_e32 v126, v43, v45
	v_sub_f32_e32 v68, v152, v79
	v_add_f32_e32 v56, v76, v41
	v_sub_f32_e32 v78, v41, v42
	v_add_f32_e32 v125, v84, v43
	v_sub_f32_e32 v143, v43, v45
	v_add_f32_e32 v145, v87, v148
	v_sub_f32_e32 v147, v148, v146
	v_add_f32_e32 v148, v148, v146
	v_add_f32_e32 v151, v46, v47
	;; [unrolled: 1-line block ×3, first 2 shown]
	v_sub_f32_e32 v155, v150, v154
	v_add_f32_e32 v150, v150, v154
	v_add_f32_e32 v157, v48, v53
	;; [unrolled: 1-line block ×4, first 2 shown]
	v_fma_f32 v49, -0.5, v54, v74
	v_fma_f32 v50, -0.5, v51, v75
	;; [unrolled: 1-line block ×3, first 2 shown]
	v_fmac_f32_e32 v77, -0.5, v55
	v_add_f32_e32 v40, v52, v40
	v_fma_f32 v51, -0.5, v126, v84
	v_fma_f32 v52, -0.5, v124, v85
	v_add_f32_e32 v149, v86, v46
	v_sub_f32_e32 v152, v46, v47
	v_add_f32_e32 v156, v66, v48
	v_sub_f32_e32 v158, v48, v53
	v_add_f32_e32 v42, v56, v42
	v_fma_f32 v86, -0.5, v151, v86
	v_fmac_f32_e32 v87, -0.5, v148
	v_fma_f32 v66, -0.5, v157, v66
	v_fmac_f32_e32 v67, -0.5, v150
	v_fmamk_f32 v55, v68, 0x3f5db3d7, v49
	v_fmamk_f32 v56, v69, 0xbf5db3d7, v50
	v_fmac_f32_e32 v49, 0xbf5db3d7, v68
	v_fmac_f32_e32 v50, 0x3f5db3d7, v69
	v_fmamk_f32 v68, v70, 0x3f5db3d7, v76
	v_fmamk_f32 v69, v78, 0xbf5db3d7, v77
	v_fmac_f32_e32 v76, 0xbf5db3d7, v70
	v_fmac_f32_e32 v77, 0x3f5db3d7, v78
	v_add_f32_e32 v46, v90, v144
	v_add_f32_e32 v45, v125, v45
	v_fmamk_f32 v70, v123, 0x3f5db3d7, v51
	v_fmamk_f32 v71, v143, 0xbf5db3d7, v52
	v_add_f32_e32 v48, v145, v146
	v_add_f32_e32 v47, v149, v47
	v_add_f32_e32 v54, v153, v154
	v_add_f32_e32 v53, v156, v53
	v_fmac_f32_e32 v51, 0xbf5db3d7, v123
	v_fmac_f32_e32 v52, 0x3f5db3d7, v143
	v_fmamk_f32 v74, v147, 0x3f5db3d7, v86
	v_fmamk_f32 v75, v152, 0xbf5db3d7, v87
	v_fmac_f32_e32 v86, 0xbf5db3d7, v147
	v_fmac_f32_e32 v87, 0x3f5db3d7, v152
	v_fmamk_f32 v78, v155, 0x3f5db3d7, v66
	v_fmamk_f32 v79, v158, 0xbf5db3d7, v67
	v_fmac_f32_e32 v66, 0xbf5db3d7, v155
	v_fmac_f32_e32 v67, 0x3f5db3d7, v158
	ds_write2_b64 v138, v[40:41], v[55:56] offset1:15
	ds_write_b64 v138, v[49:50] offset:240
	ds_write2_b64 v140, v[42:43], v[68:69] offset1:15
	ds_write_b64 v140, v[76:77] offset:240
	;; [unrolled: 2-line block ×5, first 2 shown]
	v_and_b32_e32 v70, 0xff, v59
	v_lshlrev_b32_sdwa v48, v44, v89 dst_sel:DWORD dst_unused:UNUSED_PAD src0_sel:DWORD src1_sel:BYTE_0
	s_waitcnt lgkmcnt(0)
	s_barrier
	buffer_gl0_inv
	s_clause 0x2
	global_load_dwordx4 v[52:55], v61, s[2:3] offset:320
	global_load_dwordx4 v[40:43], v[57:58], off offset:320
	global_load_dwordx4 v[44:47], v61, s[2:3] offset:464
	v_lshlrev_b32_e32 v49, 4, v70
	s_clause 0x1
	global_load_dwordx4 v[56:59], v48, s[2:3] offset:320
	global_load_dwordx4 v[48:51], v49, s[2:3] offset:320
	v_mov_b32_e32 v66, 0x87
	ds_read2_b64 v[74:77], v128 offset0:162 offset1:189
	v_lshl_add_u32 v143, v70, 3, v63
	ds_read2_b64 v[84:87], v129 offset0:68 offset1:95
	v_lshl_add_u32 v146, v60, 3, v63
	v_mul_u32_u24_sdwa v71, v88, v66 dst_sel:DWORD dst_unused:UNUSED_PAD src0_sel:WORD_0 src1_sel:DWORD
	ds_read2_b64 v[66:69], v129 offset0:14 offset1:41
	v_add_nc_u32_e32 v145, 0x800, v143
	v_add_nc_u32_sdwa v62, v71, v89 dst_sel:DWORD dst_unused:UNUSED_PAD src0_sel:DWORD src1_sel:BYTE_0
	v_lshlrev_b32_e32 v71, 4, v65
	v_lshl_add_u32 v144, v62, 3, v63
	ds_read2_b64 v[88:91], v128 offset0:216 offset1:243
	ds_read2_b64 v[123:126], v128 offset0:108 offset1:135
	ds_read2_b64 v[147:150], v128 offset1:27
	ds_read_b64 v[62:63], v128 offset:3024
	ds_read2_b64 v[151:154], v128 offset0:54 offset1:81
	s_waitcnt vmcnt(0) lgkmcnt(0)
	s_barrier
	buffer_gl0_inv
	v_mul_f32_e32 v60, v67, v55
	v_mul_f32_e32 v65, v66, v55
	;; [unrolled: 1-line block ×20, first 2 shown]
	v_fma_f32 v60, v66, v54, -v60
	v_fmac_f32_e32 v65, v67, v54
	v_fma_f32 v67, v68, v42, -v70
	v_fma_f32 v68, v76, v44, -v156
	v_fmac_f32_e32 v167, v126, v52
	v_fma_f32 v76, v125, v52, -v166
	v_fmac_f32_e32 v78, v69, v42
	;; [unrolled: 2-line block ×3, first 2 shown]
	v_fmac_f32_e32 v157, v77, v44
	v_fma_f32 v69, v84, v46, -v158
	v_fmac_f32_e32 v159, v85, v46
	v_fma_f32 v75, v90, v48, -v164
	v_fma_f32 v74, v86, v58, -v160
	v_fmac_f32_e32 v161, v87, v58
	v_fma_f32 v70, v88, v56, -v162
	v_fmac_f32_e32 v163, v89, v56
	v_fmac_f32_e32 v165, v91, v48
	v_fmac_f32_e32 v168, v63, v50
	v_fma_f32 v79, v62, v50, -v169
	v_add_f32_e32 v62, v148, v167
	v_add_f32_e32 v77, v167, v65
	v_add_f32_e32 v85, v76, v60
	v_add_f32_e32 v89, v155, v78
	v_add_f32_e32 v91, v66, v67
	v_add_f32_e32 v84, v147, v76
	v_sub_f32_e32 v87, v76, v60
	v_add_f32_e32 v76, v150, v155
	v_add_f32_e32 v126, v152, v157
	v_sub_f32_e32 v156, v157, v159
	v_add_f32_e32 v157, v157, v159
	v_add_f32_e32 v158, v68, v69
	;; [unrolled: 1-line block ×3, first 2 shown]
	v_sub_f32_e32 v86, v167, v65
	v_add_f32_e32 v90, v149, v66
	v_sub_f32_e32 v125, v66, v67
	v_add_f32_e32 v162, v154, v163
	;; [unrolled: 2-line block ×3, first 2 shown]
	v_add_f32_e32 v167, v70, v74
	v_add_f32_e32 v170, v124, v165
	v_sub_f32_e32 v171, v165, v168
	v_add_f32_e32 v165, v165, v168
	v_add_f32_e32 v173, v75, v79
	v_add_f32_e32 v63, v62, v65
	v_fma_f32 v65, -0.5, v85, v147
	v_fma_f32 v66, -0.5, v77, v148
	v_sub_f32_e32 v88, v155, v78
	v_fma_f32 v149, -0.5, v91, v149
	v_fmac_f32_e32 v150, -0.5, v89
	v_add_f32_e32 v155, v151, v68
	v_sub_f32_e32 v160, v68, v69
	v_sub_f32_e32 v174, v75, v79
	v_add_f32_e32 v68, v76, v78
	v_add_f32_e32 v76, v172, v79
	v_fma_f32 v78, -0.5, v158, v151
	v_fma_f32 v79, -0.5, v157, v152
	v_add_f32_e32 v166, v153, v70
	v_sub_f32_e32 v169, v70, v74
	v_add_f32_e32 v62, v84, v60
	v_fma_f32 v153, -0.5, v167, v153
	v_fmac_f32_e32 v154, -0.5, v163
	v_fma_f32 v123, -0.5, v173, v123
	v_fmac_f32_e32 v124, -0.5, v165
	v_fmamk_f32 v84, v86, 0x3f5db3d7, v65
	v_fmamk_f32 v85, v87, 0xbf5db3d7, v66
	v_fmac_f32_e32 v65, 0xbf5db3d7, v86
	v_fmac_f32_e32 v66, 0x3f5db3d7, v87
	v_add_f32_e32 v67, v90, v67
	v_fmamk_f32 v86, v88, 0x3f5db3d7, v149
	v_fmamk_f32 v87, v125, 0xbf5db3d7, v150
	v_fmac_f32_e32 v149, 0xbf5db3d7, v88
	v_fmac_f32_e32 v150, 0x3f5db3d7, v125
	v_add_f32_e32 v70, v126, v159
	v_add_f32_e32 v69, v155, v69
	v_fmamk_f32 v88, v156, 0x3f5db3d7, v78
	v_fmamk_f32 v89, v160, 0xbf5db3d7, v79
	v_add_f32_e32 v75, v162, v161
	v_add_f32_e32 v74, v166, v74
	;; [unrolled: 1-line block ×3, first 2 shown]
	v_fmac_f32_e32 v78, 0xbf5db3d7, v156
	v_fmac_f32_e32 v79, 0x3f5db3d7, v160
	v_fmamk_f32 v90, v164, 0x3f5db3d7, v153
	v_fmamk_f32 v91, v169, 0xbf5db3d7, v154
	v_fmac_f32_e32 v153, 0xbf5db3d7, v164
	v_fmac_f32_e32 v154, 0x3f5db3d7, v169
	v_fmamk_f32 v125, v171, 0x3f5db3d7, v123
	v_fmamk_f32 v126, v174, 0xbf5db3d7, v124
	v_fmac_f32_e32 v123, 0xbf5db3d7, v171
	v_fmac_f32_e32 v124, 0x3f5db3d7, v174
	ds_write2_b64 v128, v[62:63], v[84:85] offset1:45
	ds_write_b64 v128, v[65:66] offset:720
	ds_write2_b64 v146, v[67:68], v[86:87] offset1:45
	ds_write_b64 v146, v[149:150] offset:720
	ds_write2_b64 v128, v[69:70], v[88:89] offset0:144 offset1:189
	ds_write_b64 v128, v[78:79] offset:1872
	ds_write2_b64 v144, v[74:75], v[90:91] offset1:45
	ds_write_b64 v144, v[153:154] offset:720
	ds_write2_b64 v145, v[76:77], v[125:126] offset0:14 offset1:59
	ds_write_b64 v143, v[123:124] offset:2880
	v_lshlrev_b32_e32 v68, 4, v64
	s_waitcnt lgkmcnt(0)
	s_barrier
	buffer_gl0_inv
	s_clause 0x2
	global_load_dwordx4 v[60:63], v61, s[2:3] offset:1040
	global_load_dwordx4 v[64:67], v71, s[2:3] offset:1040
	;; [unrolled: 1-line block ×3, first 2 shown]
	v_lshlrev_b32_e32 v76, 4, v73
	s_clause 0x1
	global_load_dwordx4 v[72:75], v72, s[2:3] offset:1040
	global_load_dwordx4 v[76:79], v76, s[2:3] offset:1040
	ds_read2_b64 v[84:87], v129 offset0:14 offset1:41
	ds_read2_b64 v[88:91], v128 offset0:162 offset1:189
	;; [unrolled: 1-line block ×5, first 2 shown]
	ds_read2_b64 v[155:158], v128 offset1:27
	ds_read_b64 v[165:166], v128 offset:3024
	ds_read2_b64 v[159:162], v128 offset0:54 offset1:81
	v_add_co_u32 v163, vcc_lo, 0xca8, v82
	v_add_co_ci_u32_e32 v164, vcc_lo, 0, v83, vcc_lo
	s_mul_hi_u32 s3, s8, 0x288
	s_mul_i32 s2, s8, 0x288
	s_waitcnt vmcnt(4) lgkmcnt(7)
	v_mul_f32_e32 v167, v85, v63
	v_mul_f32_e32 v168, v84, v63
	s_waitcnt vmcnt(3)
	v_mul_f32_e32 v170, v86, v67
	s_waitcnt lgkmcnt(5)
	v_mul_f32_e32 v175, v125, v61
	v_mul_f32_e32 v176, v126, v61
	;; [unrolled: 1-line block ×5, first 2 shown]
	s_waitcnt vmcnt(2)
	v_mul_f32_e32 v173, v91, v69
	v_mul_f32_e32 v174, v90, v69
	s_waitcnt lgkmcnt(4)
	v_mul_f32_e32 v177, v148, v71
	v_mul_f32_e32 v178, v147, v71
	s_waitcnt vmcnt(1)
	v_mul_f32_e32 v179, v150, v75
	v_mul_f32_e32 v180, v149, v75
	s_waitcnt lgkmcnt(3)
	v_mul_f32_e32 v181, v152, v73
	v_mul_f32_e32 v182, v151, v73
	;; [unrolled: 6-line block ×3, first 2 shown]
	v_fma_f32 v84, v84, v62, -v167
	v_fmac_f32_e32 v168, v85, v62
	v_fmac_f32_e32 v170, v87, v66
	;; [unrolled: 1-line block ×3, first 2 shown]
	v_fma_f32 v87, v125, v60, -v176
	v_fma_f32 v167, v86, v66, -v169
	;; [unrolled: 1-line block ×3, first 2 shown]
	v_fmac_f32_e32 v172, v89, v64
	v_fma_f32 v86, v90, v68, -v173
	v_fmac_f32_e32 v174, v91, v68
	v_fma_f32 v125, v147, v70, -v177
	;; [unrolled: 2-line block ×6, first 2 shown]
	v_fmac_f32_e32 v186, v166, v78
	v_add_f32_e32 v90, v156, v175
	v_add_f32_e32 v91, v175, v168
	;; [unrolled: 1-line block ×4, first 2 shown]
	v_sub_f32_e32 v165, v172, v170
	v_add_f32_e32 v152, v172, v170
	v_add_f32_e32 v166, v85, v167
	v_add_f32_e32 v171, v86, v125
	v_add_f32_e32 v172, v174, v178
	v_sub_f32_e32 v153, v175, v168
	v_add_f32_e32 v126, v155, v87
	v_sub_f32_e32 v154, v87, v84
	v_add_f32_e32 v150, v157, v85
	v_sub_f32_e32 v169, v85, v167
	v_sub_f32_e32 v175, v86, v125
	s_waitcnt lgkmcnt(0)
	v_add_f32_e32 v176, v159, v86
	v_add_f32_e32 v179, v162, v182
	v_sub_f32_e32 v181, v182, v180
	v_add_f32_e32 v182, v182, v180
	v_add_f32_e32 v183, v88, v147
	;; [unrolled: 1-line block ×5, first 2 shown]
	v_fma_f32 v86, -0.5, v148, v155
	v_fma_f32 v87, -0.5, v91, v156
	v_sub_f32_e32 v173, v174, v178
	v_add_f32_e32 v155, v124, v184
	v_fma_f32 v157, -0.5, v166, v157
	v_fmac_f32_e32 v158, -0.5, v152
	v_fma_f32 v90, -0.5, v171, v159
	v_fma_f32 v91, -0.5, v172, v160
	v_add_f32_e32 v174, v160, v174
	v_add_f32_e32 v177, v161, v88
	v_sub_f32_e32 v185, v88, v147
	v_add_f32_e32 v188, v123, v89
	v_sub_f32_e32 v184, v184, v186
	v_sub_f32_e32 v189, v89, v149
	v_add_f32_e32 v89, v151, v170
	v_fma_f32 v161, -0.5, v183, v161
	v_fmac_f32_e32 v162, -0.5, v182
	v_fma_f32 v123, -0.5, v187, v123
	v_fmac_f32_e32 v124, -0.5, v168
	v_fmamk_f32 v151, v153, 0x3f5db3d7, v86
	v_fmamk_f32 v152, v154, 0xbf5db3d7, v87
	v_fmac_f32_e32 v86, 0xbf5db3d7, v153
	v_fmac_f32_e32 v87, 0x3f5db3d7, v154
	v_add_f32_e32 v84, v126, v84
	v_add_f32_e32 v88, v150, v167
	;; [unrolled: 1-line block ×3, first 2 shown]
	v_fmamk_f32 v153, v165, 0x3f5db3d7, v157
	v_fmac_f32_e32 v157, 0xbf5db3d7, v165
	v_fmamk_f32 v154, v169, 0xbf5db3d7, v158
	v_fmac_f32_e32 v158, 0x3f5db3d7, v169
	;; [unrolled: 2-line block ×4, first 2 shown]
	v_add_f32_e32 v125, v176, v125
	v_add_f32_e32 v126, v174, v178
	;; [unrolled: 1-line block ×5, first 2 shown]
	v_fmamk_f32 v159, v181, 0x3f5db3d7, v161
	v_fmac_f32_e32 v161, 0xbf5db3d7, v181
	v_fmamk_f32 v160, v185, 0xbf5db3d7, v162
	v_fmac_f32_e32 v162, 0x3f5db3d7, v185
	v_fmamk_f32 v165, v184, 0x3f5db3d7, v123
	v_fmamk_f32 v166, v189, 0xbf5db3d7, v124
	v_fmac_f32_e32 v123, 0xbf5db3d7, v184
	v_fmac_f32_e32 v124, 0x3f5db3d7, v189
	ds_write_b64 v128, v[151:152] offset:1080
	ds_write_b64 v128, v[86:87] offset:2160
	ds_write2_b64 v128, v[84:85], v[88:89] offset1:27
	ds_write2_b64 v129, v[157:158], v[90:91] offset0:41 offset1:68
	ds_write2_b64 v128, v[153:154], v[155:156] offset0:162 offset1:189
	;; [unrolled: 1-line block ×3, first 2 shown]
	ds_write_b64 v128, v[161:162] offset:2808
	ds_write_b64 v128, v[149:150] offset:864
	ds_write2_b64 v128, v[159:160], v[165:166] offset0:216 offset1:243
	ds_write_b64 v128, v[123:124] offset:3024
	s_waitcnt lgkmcnt(0)
	s_barrier
	buffer_gl0_inv
	s_clause 0x2
	global_load_dwordx2 v[151:152], v[80:81], off offset:1192
	global_load_dwordx2 v[153:154], v[163:164], off offset:216
	;; [unrolled: 1-line block ×3, first 2 shown]
	v_add_co_u32 v80, vcc_lo, 0x1000, v82
	v_add_co_ci_u32_e32 v81, vcc_lo, 0, v83, vcc_lo
	s_clause 0xa
	global_load_dwordx2 v[157:158], v[163:164], off offset:1512
	global_load_dwordx2 v[159:160], v[80:81], off offset:1736
	;; [unrolled: 1-line block ×11, first 2 shown]
	v_add_co_u32 v80, vcc_lo, 0x1800, v82
	v_add_co_ci_u32_e32 v81, vcc_lo, 0, v83, vcc_lo
	global_load_dwordx2 v[179:180], v[80:81], off offset:120
	ds_read2_b64 v[80:83], v128 offset1:27
	ds_read2_b64 v[84:87], v128 offset0:162 offset1:189
	ds_read2_b64 v[88:91], v129 offset0:68 offset1:95
	;; [unrolled: 1-line block ×4, first 2 shown]
	s_waitcnt vmcnt(14) lgkmcnt(4)
	v_mul_f32_e32 v181, v81, v152
	v_mul_f32_e32 v182, v80, v152
	s_waitcnt vmcnt(13)
	v_mul_f32_e32 v183, v83, v154
	v_mul_f32_e32 v152, v82, v154
	s_waitcnt vmcnt(12) lgkmcnt(3)
	v_mul_f32_e32 v184, v85, v156
	v_fma_f32 v181, v80, v151, -v181
	v_fmac_f32_e32 v182, v81, v151
	v_fma_f32 v151, v82, v153, -v183
	v_fmac_f32_e32 v152, v83, v153
	v_mul_f32_e32 v154, v84, v156
	s_waitcnt vmcnt(11)
	v_mul_f32_e32 v183, v87, v158
	v_mul_f32_e32 v156, v86, v158
	v_fma_f32 v153, v84, v155, -v184
	s_waitcnt vmcnt(10) lgkmcnt(2)
	v_mul_f32_e32 v184, v89, v160
	v_mul_f32_e32 v158, v88, v160
	ds_read2_b64 v[80:83], v128 offset0:216 offset1:243
	v_fmac_f32_e32 v154, v85, v155
	v_fma_f32 v155, v86, v157, -v183
	v_fmac_f32_e32 v156, v87, v157
	v_fma_f32 v157, v88, v159, -v184
	v_fmac_f32_e32 v158, v89, v159
	ds_read_b64 v[88:89], v128 offset:3024
	ds_read2_b64 v[84:87], v129 offset0:14 offset1:41
	s_waitcnt vmcnt(9)
	v_mul_f32_e32 v160, v90, v162
	v_mul_f32_e32 v183, v91, v162
	s_waitcnt vmcnt(8) lgkmcnt(4)
	v_mul_f32_e32 v184, v126, v166
	s_waitcnt vmcnt(7)
	v_mul_f32_e32 v162, v123, v168
	v_fmac_f32_e32 v160, v91, v161
	v_mul_f32_e32 v91, v125, v166
	v_fma_f32 v159, v90, v161, -v183
	v_fma_f32 v90, v125, v165, -v184
	v_mul_f32_e32 v161, v124, v168
	s_waitcnt vmcnt(6) lgkmcnt(3)
	v_mul_f32_e32 v166, v148, v170
	v_fmac_f32_e32 v91, v126, v165
	s_waitcnt vmcnt(5)
	v_mul_f32_e32 v126, v150, v172
	v_mul_f32_e32 v165, v149, v172
	;; [unrolled: 1-line block ×3, first 2 shown]
	s_waitcnt vmcnt(1) lgkmcnt(2)
	v_mul_f32_e32 v168, v81, v164
	v_mul_f32_e32 v170, v80, v164
	v_fma_f32 v164, v149, v171, -v126
	v_fmac_f32_e32 v165, v150, v171
	s_waitcnt vmcnt(0) lgkmcnt(1)
	v_mul_f32_e32 v171, v89, v180
	v_mul_f32_e32 v172, v88, v180
	v_fma_f32 v161, v123, v167, -v161
	v_fmac_f32_e32 v162, v124, v167
	v_mul_f32_e32 v123, v83, v174
	v_mul_f32_e32 v167, v82, v174
	v_fma_f32 v124, v147, v169, -v166
	s_waitcnt lgkmcnt(0)
	v_mul_f32_e32 v147, v85, v176
	v_fmac_f32_e32 v125, v148, v169
	v_mul_f32_e32 v148, v84, v176
	v_mul_f32_e32 v126, v87, v178
	;; [unrolled: 1-line block ×3, first 2 shown]
	v_fma_f32 v171, v88, v179, -v171
	v_fmac_f32_e32 v172, v89, v179
	v_fma_f32 v166, v82, v173, -v123
	v_fmac_f32_e32 v167, v83, v173
	;; [unrolled: 2-line block ×5, first 2 shown]
	ds_write2_b64 v128, v[181:182], v[151:152] offset1:27
	ds_write2_b64 v128, v[153:154], v[155:156] offset0:162 offset1:189
	ds_write2_b64 v129, v[157:158], v[159:160] offset0:68 offset1:95
	ds_write2_b64 v128, v[161:162], v[90:91] offset0:54 offset1:81
	ds_write2_b64 v128, v[124:125], v[164:165] offset0:108 offset1:135
	ds_write2_b64 v128, v[169:170], v[166:167] offset0:216 offset1:243
	ds_write2_b64 v129, v[147:148], v[149:150] offset0:14 offset1:41
	ds_write_b64 v128, v[171:172] offset:3024
	s_waitcnt lgkmcnt(0)
	s_barrier
	buffer_gl0_inv
	ds_read2_b64 v[80:83], v128 offset0:54 offset1:81
	ds_read2_b64 v[123:126], v128 offset0:162 offset1:189
	;; [unrolled: 1-line block ×4, first 2 shown]
	ds_read2_b64 v[84:87], v128 offset1:27
	ds_read2_b64 v[197:200], v129 offset0:14 offset1:41
	ds_read2_b64 v[171:174], v128 offset0:108 offset1:135
	s_waitcnt lgkmcnt(5)
	v_sub_f32_e32 v151, v82, v123
	s_waitcnt lgkmcnt(4)
	v_add_f32_e32 v152, v123, v161
	v_add_f32_e32 v154, v124, v162
	s_waitcnt lgkmcnt(2)
	v_add_f32_e32 v157, v84, v82
	v_add_f32_e32 v158, v85, v83
	;; [unrolled: 3-line block ×3, first 2 shown]
	v_sub_f32_e32 v155, v83, v124
	v_sub_f32_e32 v148, v124, v162
	;; [unrolled: 1-line block ×5, first 2 shown]
	v_add_f32_e32 v182, v125, v197
	v_sub_f32_e32 v183, v125, v171
	v_add_f32_e32 v184, v126, v198
	v_sub_f32_e32 v185, v126, v172
	v_sub_f32_e32 v149, v126, v198
	;; [unrolled: 1-line block ×5, first 2 shown]
	v_add_f32_e32 v165, v81, v174
	v_add_f32_e32 v123, v157, v123
	v_add_f32_e32 v124, v158, v124
	v_add_f32_e32 v125, v163, v125
	v_add_f32_e32 v126, v164, v126
	v_sub_f32_e32 v153, v88, v161
	v_sub_f32_e32 v156, v89, v162
	;; [unrolled: 1-line block ×4, first 2 shown]
	v_add_f32_e32 v169, v165, v160
	v_add_f32_e32 v164, v123, v161
	;; [unrolled: 1-line block ×5, first 2 shown]
	v_sub_f32_e32 v162, v172, v91
	v_sub_f32_e32 v161, v171, v90
	v_add_f32_e32 v171, v125, v197
	v_add_f32_e32 v172, v126, v198
	v_mad_u64_u32 v[125:126], null, s10, v122, 0
	v_sub_f32_e32 v196, v197, v90
	v_sub_f32_e32 v195, v198, v91
	;; [unrolled: 1-line block ×4, first 2 shown]
	ds_read_b64 v[123:124], v128 offset:3024
	v_add_f32_e32 v167, v80, v173
	v_mad_u64_u32 v[197:198], null, s11, v122, v[126:127]
	v_add_f32_e32 v188, v159, v199
	v_add_f32_e32 v189, v160, v200
	;; [unrolled: 1-line block ×3, first 2 shown]
	v_sub_f32_e32 v163, v160, v174
	v_sub_f32_e32 v157, v159, v199
	;; [unrolled: 1-line block ×3, first 2 shown]
	v_mov_b32_e32 v126, v197
	v_mad_u64_u32 v[197:198], null, s8, v127, 0
	v_sub_f32_e32 v170, v174, v160
	v_add_f32_e32 v167, v167, v199
	v_lshlrev_b64 v[125:126], 3, v[125:126]
	v_add_f32_e32 v169, v169, v200
	v_sub_f32_e32 v166, v173, v159
	v_sub_f32_e32 v168, v159, v173
	v_mov_b32_e32 v122, v198
	s_waitcnt lgkmcnt(0)
	v_add_f32_e32 v190, v174, v124
	v_sub_f32_e32 v160, v174, v124
	v_sub_f32_e32 v177, v200, v124
	;; [unrolled: 1-line block ×5, first 2 shown]
	v_mad_u64_u32 v[198:199], null, s9, v127, v[122:123]
	v_add_f32_e32 v200, v151, v153
	v_add_f32_e32 v122, v82, v88
	v_add_f32_e32 v151, v83, v89
	v_add_co_u32 v127, vcc_lo, s0, v125
	v_sub_f32_e32 v159, v173, v123
	v_add_f32_e32 v173, v173, v123
	v_add_co_ci_u32_e32 v199, vcc_lo, s1, v126, vcc_lo
	v_fma_f32 v125, -0.5, v152, v84
	v_fma_f32 v126, -0.5, v154, v85
	v_add_f32_e32 v178, v178, v179
	v_add_f32_e32 v179, v180, v181
	v_fma_f32 v152, -0.5, v184, v87
	v_add_f32_e32 v181, v185, v195
	v_sub_f32_e32 v184, v83, v89
	v_sub_f32_e32 v185, v82, v88
	v_fma_f32 v84, -0.5, v122, v84
	v_fma_f32 v85, -0.5, v151, v85
	;; [unrolled: 1-line block ×4, first 2 shown]
	v_fmac_f32_e32 v87, -0.5, v191
	v_fma_f32 v153, -0.5, v188, v80
	v_fma_f32 v80, -0.5, v173, v80
	;; [unrolled: 1-line block ×3, first 2 shown]
	v_fmac_f32_e32 v81, -0.5, v190
	v_add_f32_e32 v82, v164, v88
	v_add_f32_e32 v83, v165, v89
	;; [unrolled: 1-line block ×4, first 2 shown]
	v_fmamk_f32 v90, v184, 0xbf737871, v125
	v_fmamk_f32 v91, v185, 0x3f737871, v126
	v_fmac_f32_e32 v125, 0x3f737871, v184
	v_fmac_f32_e32 v126, 0xbf737871, v185
	v_add_f32_e32 v177, v163, v177
	v_fmamk_f32 v163, v148, 0x3f737871, v84
	v_fmac_f32_e32 v84, 0xbf737871, v148
	v_fmamk_f32 v164, v147, 0xbf737871, v85
	v_fmac_f32_e32 v85, 0x3f737871, v147
	v_add_f32_e32 v175, v166, v175
	v_fmamk_f32 v165, v149, 0x3f737871, v86
	v_fmac_f32_e32 v86, 0xbf737871, v149
	v_fmamk_f32 v166, v150, 0xbf737871, v87
	v_fmac_f32_e32 v87, 0x3f737871, v150
	v_add_f32_e32 v173, v168, v174
	v_add_f32_e32 v122, v167, v123
	;; [unrolled: 1-line block ×3, first 2 shown]
	v_fmamk_f32 v167, v162, 0xbf737871, v151
	v_fmamk_f32 v168, v161, 0x3f737871, v152
	;; [unrolled: 1-line block ×3, first 2 shown]
	v_fmac_f32_e32 v80, 0xbf737871, v158
	v_add_f32_e32 v201, v155, v156
	v_add_f32_e32 v176, v170, v176
	v_fmac_f32_e32 v90, 0xbf167918, v148
	v_fmac_f32_e32 v125, 0x3f167918, v148
	v_fmamk_f32 v170, v157, 0xbf737871, v81
	v_fmac_f32_e32 v81, 0x3f737871, v157
	v_fmac_f32_e32 v151, 0x3f737871, v162
	;; [unrolled: 1-line block ×5, first 2 shown]
	v_fmamk_f32 v147, v160, 0xbf737871, v153
	v_fmac_f32_e32 v153, 0x3f737871, v160
	v_fmamk_f32 v148, v159, 0x3f737871, v154
	v_fmac_f32_e32 v154, 0xbf737871, v159
	v_fmac_f32_e32 v163, 0xbf167918, v184
	;; [unrolled: 1-line block ×5, first 2 shown]
	v_add_f32_e32 v180, v183, v196
	v_fmac_f32_e32 v165, 0xbf167918, v162
	v_fmac_f32_e32 v86, 0x3f167918, v162
	;; [unrolled: 1-line block ×4, first 2 shown]
	v_add_f32_e32 v182, v186, v193
	v_add_f32_e32 v183, v187, v194
	v_lshlrev_b64 v[155:156], 3, v[197:198]
	v_fmac_f32_e32 v167, 0xbf167918, v149
	v_fmac_f32_e32 v168, 0x3f167918, v150
	;; [unrolled: 1-line block ×27, first 2 shown]
	s_barrier
	buffer_gl0_inv
	v_fmac_f32_e32 v81, 0x3e9e377a, v177
	v_fmac_f32_e32 v151, 0x3e9e377a, v182
	;; [unrolled: 1-line block ×9, first 2 shown]
	ds_write2_b64 v130, v[82:83], v[90:91] offset1:1
	ds_write2_b64 v130, v[163:164], v[84:85] offset0:2 offset1:3
	ds_write_b64 v130, v[125:126] offset:32
	ds_write2_b64 v131, v[165:166], v[86:87] offset0:2 offset1:3
	ds_write2_b64 v131, v[88:89], v[167:168] offset1:1
	ds_write_b64 v131, v[151:152] offset:32
	ds_write2_b64 v132, v[122:123], v[147:148] offset1:1
	ds_write_b64 v132, v[153:154] offset:32
	ds_write2_b64 v132, v[169:170], v[80:81] offset0:2 offset1:3
	v_add_co_u32 v80, vcc_lo, v127, v155
	s_waitcnt lgkmcnt(0)
	s_barrier
	buffer_gl0_inv
	ds_read2_b64 v[147:150], v128 offset0:162 offset1:189
	ds_read2_b64 v[86:89], v128 offset0:216 offset1:243
	v_add_co_ci_u32_e32 v81, vcc_lo, v199, v156, vcc_lo
	ds_read2_b64 v[122:125], v129 offset0:68 offset1:95
	ds_read2_b64 v[151:154], v129 offset0:14 offset1:41
	;; [unrolled: 1-line block ×3, first 2 shown]
	ds_read_b64 v[90:91], v128 offset:3024
	ds_read2_b64 v[159:162], v128 offset1:27
	ds_read2_b64 v[163:166], v128 offset0:54 offset1:81
	s_waitcnt lgkmcnt(0)
	s_barrier
	buffer_gl0_inv
	s_mul_i32 s0, s9, 0x288
	v_add_co_u32 v82, vcc_lo, v80, s2
	s_add_i32 s3, s3, s0
	s_mul_i32 s1, s9, 0xfffff6b8
	v_add_co_ci_u32_e32 v83, vcc_lo, s3, v81, vcc_lo
	v_add_co_u32 v84, vcc_lo, v82, s2
	s_sub_i32 s4, s1, s8
	v_add_co_ci_u32_e32 v85, vcc_lo, s3, v83, vcc_lo
	v_mul_f32_e32 v169, v3, v152
	v_mul_f32_e32 v3, v3, v151
	;; [unrolled: 1-line block ×20, first 2 shown]
	v_fmac_f32_e32 v169, v2, v151
	v_fma_f32 v1, v0, v158, -v1
	v_fmac_f32_e32 v170, v0, v157
	v_fma_f32 v2, v2, v152, -v3
	;; [unrolled: 2-line block ×10, first 2 shown]
	v_add_f32_e32 v0, v170, v169
	v_add_f32_e32 v6, v1, v2
	;; [unrolled: 1-line block ×6, first 2 shown]
	v_sub_f32_e32 v88, v12, v14
	v_add_f32_e32 v12, v12, v14
	v_add_f32_e32 v90, v132, v131
	v_add_f32_e32 v3, v160, v1
	v_sub_f32_e32 v17, v1, v2
	v_add_f32_e32 v7, v159, v170
	v_sub_f32_e32 v18, v170, v169
	v_add_f32_e32 v89, v163, v132
	;; [unrolled: 2-line block ×3, first 2 shown]
	v_add_f32_e32 v132, v127, v130
	v_add_f32_e32 v149, v8, v13
	;; [unrolled: 1-line block ×3, first 2 shown]
	v_fma_f32 v0, -0.5, v0, v159
	v_fma_f32 v1, -0.5, v6, v160
	v_sub_f32_e32 v19, v4, v5
	v_add_f32_e32 v4, v161, v167
	v_sub_f32_e32 v86, v167, v168
	v_add_f32_e32 v91, v166, v9
	v_fma_f32 v161, -0.5, v15, v161
	v_fmac_f32_e32 v162, -0.5, v11
	v_add_f32_e32 v122, v165, v127
	v_add_f32_e32 v147, v156, v8
	;; [unrolled: 1-line block ×4, first 2 shown]
	v_fma_f32 v10, -0.5, v90, v163
	v_fma_f32 v11, -0.5, v12, v164
	v_sub_f32_e32 v124, v9, v16
	v_sub_f32_e32 v127, v127, v130
	;; [unrolled: 1-line block ×4, first 2 shown]
	v_add_f32_e32 v3, v3, v2
	v_add_f32_e32 v2, v7, v169
	;; [unrolled: 1-line block ×3, first 2 shown]
	v_fma_f32 v165, -0.5, v132, v165
	v_fmac_f32_e32 v166, -0.5, v125
	v_fma_f32 v155, -0.5, v151, v155
	v_fmac_f32_e32 v156, -0.5, v149
	v_fmamk_f32 v14, v17, 0xbf5db3d7, v0
	v_fmamk_f32 v15, v18, 0x3f5db3d7, v1
	v_fmac_f32_e32 v0, 0x3f5db3d7, v17
	v_fmac_f32_e32 v1, 0xbf5db3d7, v18
	v_add_f32_e32 v4, v4, v168
	v_add_f32_e32 v9, v91, v16
	v_fmamk_f32 v16, v19, 0xbf5db3d7, v161
	v_fmamk_f32 v17, v86, 0x3f5db3d7, v162
	v_fmac_f32_e32 v161, 0x3f5db3d7, v19
	v_fmac_f32_e32 v162, 0xbf5db3d7, v86
	v_add_f32_e32 v6, v89, v131
	v_add_f32_e32 v8, v122, v130
	;; [unrolled: 1-line block ×4, first 2 shown]
	v_fmamk_f32 v18, v88, 0xbf5db3d7, v10
	v_fmamk_f32 v19, v123, 0x3f5db3d7, v11
	v_fmac_f32_e32 v10, 0x3f5db3d7, v88
	v_fmac_f32_e32 v11, 0xbf5db3d7, v123
	v_fmamk_f32 v86, v124, 0xbf5db3d7, v165
	v_fmamk_f32 v87, v127, 0x3f5db3d7, v166
	v_fmac_f32_e32 v165, 0x3f5db3d7, v124
	v_fmac_f32_e32 v166, 0xbf5db3d7, v127
	;; [unrolled: 4-line block ×3, first 2 shown]
	ds_write2_b64 v133, v[2:3], v[14:15] offset1:5
	ds_write_b64 v133, v[0:1] offset:80
	ds_write2_b64 v136, v[4:5], v[16:17] offset1:5
	ds_write_b64 v136, v[161:162] offset:80
	;; [unrolled: 2-line block ×5, first 2 shown]
	s_waitcnt lgkmcnt(0)
	s_barrier
	buffer_gl0_inv
	ds_read_b64 v[18:19], v128 offset:3024
	ds_read2_b64 v[6:9], v128 offset0:216 offset1:243
	ds_read2_b64 v[10:13], v129 offset0:68 offset1:95
	;; [unrolled: 1-line block ×5, first 2 shown]
	ds_read2_b64 v[130:133], v128 offset1:27
	ds_read2_b64 v[134:137], v128 offset0:54 offset1:81
	s_waitcnt lgkmcnt(0)
	s_barrier
	buffer_gl0_inv
	v_add_co_u32 v0, vcc_lo, v84, s2
	v_add_co_ci_u32_e32 v1, vcc_lo, s3, v85, vcc_lo
	s_mov_b32 s0, 0x30abee4d
	v_add_co_u32 v2, vcc_lo, v0, s2
	v_add_co_ci_u32_e32 v3, vcc_lo, s3, v1, vcc_lo
	s_mov_b32 s1, 0x3f643a27
	v_mad_u64_u32 v[4:5], null, 0xfffff6b8, s8, v[2:3]
	v_mul_f32_e32 v127, v35, v13
	v_mul_f32_e32 v147, v31, v11
	;; [unrolled: 1-line block ×20, first 2 shown]
	v_fmac_f32_e32 v127, v34, v12
	v_fmac_f32_e32 v147, v30, v10
	v_fma_f32 v12, v30, v11, -v31
	v_fma_f32 v10, v20, v125, -v21
	;; [unrolled: 1-line block ×3, first 2 shown]
	v_fmac_f32_e32 v152, v20, v124
	v_fmac_f32_e32 v151, v22, v86
	v_fmac_f32_e32 v90, v38, v18
	v_fmac_f32_e32 v91, v36, v8
	v_fma_f32 v8, v36, v9, -v37
	v_fma_f32 v18, v34, v13, -v35
	v_fmac_f32_e32 v149, v24, v14
	v_fma_f32 v9, v24, v15, -v25
	v_fmac_f32_e32 v150, v26, v88
	;; [unrolled: 2-line block ×4, first 2 shown]
	v_fma_f32 v7, v28, v17, -v29
	v_fma_f32 v19, v38, v19, -v39
	v_add_f32_e32 v14, v131, v10
	v_sub_f32_e32 v22, v10, v11
	v_add_f32_e32 v10, v10, v11
	v_add_f32_e32 v16, v152, v151
	;; [unrolled: 1-line block ×7, first 2 shown]
	v_sub_f32_e32 v23, v152, v151
	v_add_f32_e32 v17, v133, v9
	v_sub_f32_e32 v24, v9, v13
	v_add_f32_e32 v21, v132, v149
	v_add_f32_e32 v35, v6, v18
	;; [unrolled: 1-line block ×5, first 2 shown]
	v_sub_f32_e32 v88, v8, v19
	v_add_f32_e32 v89, v123, v8
	v_fma_f32 v8, -0.5, v16, v130
	v_fma_f32 v9, -0.5, v10, v131
	v_sub_f32_e32 v26, v149, v150
	v_fma_f32 v132, -0.5, v25, v132
	v_fmac_f32_e32 v133, -0.5, v20
	v_add_f32_e32 v27, v135, v7
	v_sub_f32_e32 v28, v7, v12
	v_add_f32_e32 v30, v134, v148
	v_sub_f32_e32 v32, v148, v147
	;; [unrolled: 2-line block ×3, first 2 shown]
	v_add_f32_e32 v7, v14, v11
	v_add_f32_e32 v6, v15, v151
	v_fma_f32 v14, -0.5, v31, v134
	v_fma_f32 v15, -0.5, v29, v135
	v_add_f32_e32 v36, v136, v126
	v_sub_f32_e32 v38, v126, v127
	v_add_f32_e32 v39, v122, v91
	v_sub_f32_e32 v91, v91, v90
	v_add_f32_e32 v10, v21, v150
	v_fma_f32 v136, -0.5, v37, v136
	v_fmac_f32_e32 v137, -0.5, v35
	v_fma_f32 v122, -0.5, v86, v122
	v_fmac_f32_e32 v123, -0.5, v87
	v_fmamk_f32 v20, v22, 0xbf5db3d7, v8
	v_fmamk_f32 v21, v23, 0x3f5db3d7, v9
	v_fmac_f32_e32 v8, 0x3f5db3d7, v22
	v_fmac_f32_e32 v9, 0xbf5db3d7, v23
	v_add_f32_e32 v11, v17, v13
	v_fmamk_f32 v22, v24, 0xbf5db3d7, v132
	v_fmamk_f32 v23, v26, 0x3f5db3d7, v133
	v_fmac_f32_e32 v132, 0x3f5db3d7, v24
	v_fmac_f32_e32 v133, 0xbf5db3d7, v26
	v_add_f32_e32 v13, v27, v12
	v_add_f32_e32 v12, v30, v147
	v_fmamk_f32 v24, v28, 0xbf5db3d7, v14
	v_fmamk_f32 v25, v32, 0x3f5db3d7, v15
	v_add_f32_e32 v17, v33, v18
	v_add_f32_e32 v16, v36, v127
	;; [unrolled: 1-line block ×4, first 2 shown]
	v_fmac_f32_e32 v14, 0x3f5db3d7, v28
	v_fmac_f32_e32 v15, 0xbf5db3d7, v32
	v_fmamk_f32 v26, v34, 0xbf5db3d7, v136
	v_fmamk_f32 v27, v38, 0x3f5db3d7, v137
	v_fmac_f32_e32 v136, 0x3f5db3d7, v34
	v_fmac_f32_e32 v137, 0xbf5db3d7, v38
	v_fmamk_f32 v28, v88, 0xbf5db3d7, v122
	v_fmamk_f32 v29, v91, 0x3f5db3d7, v123
	v_fmac_f32_e32 v122, 0x3f5db3d7, v88
	v_fmac_f32_e32 v123, 0xbf5db3d7, v91
	ds_write2_b64 v138, v[6:7], v[20:21] offset1:15
	ds_write_b64 v138, v[8:9] offset:240
	ds_write2_b64 v140, v[10:11], v[22:23] offset1:15
	ds_write_b64 v140, v[132:133] offset:240
	;; [unrolled: 2-line block ×5, first 2 shown]
	s_waitcnt lgkmcnt(0)
	s_barrier
	buffer_gl0_inv
	ds_read2_b64 v[10:13], v128 offset0:108 offset1:135
	ds_read2_b64 v[14:17], v129 offset0:14 offset1:41
	;; [unrolled: 1-line block ×5, first 2 shown]
	ds_read_b64 v[38:39], v128 offset:3024
	ds_read2_b64 v[30:33], v128 offset1:27
	ds_read2_b64 v[34:37], v128 offset0:54 offset1:81
	s_waitcnt lgkmcnt(0)
	s_barrier
	buffer_gl0_inv
	v_add_nc_u32_e32 v5, s4, v5
	v_add_co_u32 v6, vcc_lo, v4, s2
	v_add_co_ci_u32_e32 v7, vcc_lo, s3, v5, vcc_lo
	v_add_co_u32 v8, vcc_lo, v6, s2
	v_add_co_ci_u32_e32 v9, vcc_lo, s3, v7, vcc_lo
	v_mul_f32_e32 v86, v53, v13
	v_mul_f32_e32 v53, v53, v12
	;; [unrolled: 1-line block ×20, first 2 shown]
	v_fmac_f32_e32 v86, v52, v12
	v_fma_f32 v12, v52, v13, -v53
	v_fmac_f32_e32 v87, v54, v14
	v_fma_f32 v13, v54, v15, -v55
	v_fmac_f32_e32 v88, v42, v16
	v_fma_f32 v17, v42, v17, -v43
	v_fmac_f32_e32 v89, v40, v18
	v_fma_f32 v14, v40, v19, -v41
	v_fmac_f32_e32 v90, v44, v20
	v_fma_f32 v15, v44, v21, -v45
	v_fmac_f32_e32 v91, v46, v22
	v_fma_f32 v19, v46, v23, -v47
	v_fmac_f32_e32 v122, v58, v24
	v_fma_f32 v21, v58, v25, -v59
	v_fmac_f32_e32 v123, v56, v26
	v_fma_f32 v16, v56, v27, -v57
	v_fmac_f32_e32 v124, v48, v28
	v_fma_f32 v18, v48, v29, -v49
	v_fmac_f32_e32 v125, v50, v38
	v_fma_f32 v25, v50, v39, -v51
	v_add_f32_e32 v22, v86, v87
	v_add_f32_e32 v24, v12, v13
	v_add_f32_e32 v29, v89, v88
	v_add_f32_e32 v40, v14, v17
	v_add_f32_e32 v23, v31, v12
	v_add_f32_e32 v43, v90, v91
	v_add_f32_e32 v46, v15, v19
	v_add_f32_e32 v20, v30, v86
	v_sub_f32_e32 v27, v12, v13
	v_sub_f32_e32 v28, v86, v87
	v_add_f32_e32 v26, v32, v89
	v_sub_f32_e32 v38, v14, v17
	v_add_f32_e32 v39, v33, v14
	;; [unrolled: 2-line block ×3, first 2 shown]
	v_add_f32_e32 v49, v123, v122
	v_add_f32_e32 v52, v16, v21
	;; [unrolled: 1-line block ×4, first 2 shown]
	v_fma_f32 v14, -0.5, v22, v30
	v_fma_f32 v15, -0.5, v24, v31
	v_sub_f32_e32 v41, v89, v88
	v_fma_f32 v32, -0.5, v29, v32
	v_fmac_f32_e32 v33, -0.5, v40
	v_add_f32_e32 v42, v34, v90
	v_sub_f32_e32 v47, v90, v91
	v_add_f32_e32 v48, v36, v123
	v_add_f32_e32 v50, v37, v16
	;; [unrolled: 1-line block ×3, first 2 shown]
	v_fma_f32 v22, -0.5, v43, v34
	v_fma_f32 v23, -0.5, v46, v35
	v_sub_f32_e32 v51, v16, v21
	v_sub_f32_e32 v53, v123, v122
	v_add_f32_e32 v54, v10, v124
	v_add_f32_e32 v56, v11, v18
	v_sub_f32_e32 v57, v18, v25
	v_sub_f32_e32 v59, v124, v125
	v_add_f32_e32 v12, v20, v87
	v_add_f32_e32 v16, v26, v88
	v_fma_f32 v36, -0.5, v49, v36
	v_fmac_f32_e32 v37, -0.5, v52
	v_fma_f32 v10, -0.5, v55, v10
	v_fmac_f32_e32 v11, -0.5, v58
	v_fmamk_f32 v26, v27, 0xbf5db3d7, v14
	v_fmac_f32_e32 v14, 0x3f5db3d7, v27
	v_fmamk_f32 v27, v28, 0x3f5db3d7, v15
	v_fmac_f32_e32 v15, 0xbf5db3d7, v28
	v_add_f32_e32 v17, v39, v17
	v_fmamk_f32 v28, v38, 0xbf5db3d7, v32
	v_fmamk_f32 v29, v41, 0x3f5db3d7, v33
	v_fmac_f32_e32 v32, 0x3f5db3d7, v38
	v_fmac_f32_e32 v33, 0xbf5db3d7, v41
	v_add_f32_e32 v18, v42, v91
	v_add_f32_e32 v19, v45, v19
	;; [unrolled: 1-line block ×4, first 2 shown]
	v_fmamk_f32 v30, v44, 0xbf5db3d7, v22
	v_fmac_f32_e32 v22, 0x3f5db3d7, v44
	v_fmamk_f32 v31, v47, 0x3f5db3d7, v23
	v_fmac_f32_e32 v23, 0xbf5db3d7, v47
	v_add_f32_e32 v24, v54, v125
	v_add_f32_e32 v25, v56, v25
	v_fmamk_f32 v34, v51, 0xbf5db3d7, v36
	v_fmac_f32_e32 v36, 0x3f5db3d7, v51
	v_fmamk_f32 v35, v53, 0x3f5db3d7, v37
	v_fmac_f32_e32 v37, 0xbf5db3d7, v53
	;; [unrolled: 2-line block ×4, first 2 shown]
	ds_write2_b64 v128, v[12:13], v[26:27] offset1:45
	ds_write_b64 v128, v[14:15] offset:720
	ds_write2_b64 v146, v[16:17], v[28:29] offset1:45
	ds_write_b64 v146, v[32:33] offset:720
	ds_write2_b64 v128, v[18:19], v[30:31] offset0:144 offset1:189
	ds_write_b64 v128, v[22:23] offset:1872
	ds_write2_b64 v144, v[20:21], v[34:35] offset1:45
	ds_write_b64 v144, v[36:37] offset:720
	ds_write2_b64 v145, v[24:25], v[38:39] offset0:14 offset1:59
	ds_write_b64 v143, v[10:11] offset:2880
	s_waitcnt lgkmcnt(0)
	s_barrier
	buffer_gl0_inv
	ds_read2_b64 v[16:19], v128 offset0:108 offset1:135
	ds_read2_b64 v[20:23], v129 offset0:14 offset1:41
	;; [unrolled: 1-line block ×5, first 2 shown]
	ds_read_b64 v[44:45], v128 offset:3024
	ds_read2_b64 v[36:39], v128 offset1:27
	ds_read2_b64 v[40:43], v128 offset0:54 offset1:81
	v_add_co_u32 v10, vcc_lo, v8, s2
	v_add_co_ci_u32_e32 v11, vcc_lo, s3, v9, vcc_lo
	v_add_co_u32 v12, vcc_lo, v10, s2
	v_add_co_ci_u32_e32 v13, vcc_lo, s3, v11, vcc_lo
	v_mad_u64_u32 v[14:15], null, 0xfffff6b8, s8, v[12:13]
	s_waitcnt lgkmcnt(7)
	v_mul_f32_e32 v46, v61, v19
	v_mul_f32_e32 v47, v61, v18
	s_waitcnt lgkmcnt(6)
	v_mul_f32_e32 v48, v63, v21
	v_mul_f32_e32 v49, v63, v20
	v_mul_f32_e32 v50, v67, v23
	v_mul_f32_e32 v51, v67, v22
	s_waitcnt lgkmcnt(5)
	v_mul_f32_e32 v52, v65, v25
	v_mul_f32_e32 v53, v65, v24
	;; [unrolled: 5-line block ×3, first 2 shown]
	v_mul_f32_e32 v59, v75, v30
	s_waitcnt lgkmcnt(3)
	v_mul_f32_e32 v65, v77, v35
	v_mul_f32_e32 v67, v77, v34
	s_waitcnt lgkmcnt(2)
	v_mul_f32_e32 v69, v79, v45
	v_mul_f32_e32 v71, v79, v44
	;; [unrolled: 1-line block ×5, first 2 shown]
	v_fmac_f32_e32 v46, v60, v18
	v_fma_f32 v18, v60, v19, -v47
	v_fmac_f32_e32 v48, v62, v20
	v_fma_f32 v19, v62, v21, -v49
	;; [unrolled: 2-line block ×6, first 2 shown]
	v_fma_f32 v27, v74, v31, -v59
	v_fmac_f32_e32 v65, v76, v34
	v_fma_f32 v25, v76, v35, -v67
	v_fmac_f32_e32 v69, v78, v44
	;; [unrolled: 2-line block ×3, first 2 shown]
	v_fmac_f32_e32 v61, v72, v32
	v_fma_f32 v24, v72, v33, -v63
	v_add_f32_e32 v28, v46, v48
	v_add_f32_e32 v30, v18, v19
	s_waitcnt lgkmcnt(1)
	v_add_f32_e32 v26, v36, v46
	v_add_f32_e32 v29, v37, v18
	v_sub_f32_e32 v34, v46, v48
	v_add_f32_e32 v35, v52, v50
	v_add_f32_e32 v46, v20, v21
	v_add_f32_e32 v51, v54, v56
	v_add_f32_e32 v55, v22, v23
	v_add_f32_e32 v66, v65, v69
	v_add_f32_e32 v70, v25, v31
	v_sub_f32_e32 v33, v18, v19
	v_add_f32_e32 v32, v38, v52
	v_add_f32_e32 v59, v61, v58
	s_waitcnt lgkmcnt(0)
	v_add_f32_e32 v60, v43, v24
	v_sub_f32_e32 v62, v24, v27
	v_add_f32_e32 v63, v24, v27
	v_add_f32_e32 v67, v17, v25
	v_sub_f32_e32 v68, v25, v31
	v_fma_f32 v24, -0.5, v28, v36
	v_fma_f32 v25, -0.5, v30, v37
	v_add_f32_e32 v45, v39, v20
	v_sub_f32_e32 v44, v20, v21
	v_sub_f32_e32 v47, v52, v50
	v_add_f32_e32 v49, v40, v54
	v_sub_f32_e32 v52, v22, v23
	v_sub_f32_e32 v54, v54, v56
	v_add_f32_e32 v19, v29, v19
	v_fma_f32 v38, -0.5, v35, v38
	v_fmac_f32_e32 v39, -0.5, v46
	v_fma_f32 v28, -0.5, v51, v40
	v_fma_f32 v29, -0.5, v55, v41
	v_add_f32_e32 v53, v41, v22
	v_add_f32_e32 v64, v16, v65
	v_sub_f32_e32 v65, v65, v69
	v_fma_f32 v16, -0.5, v66, v16
	v_fmac_f32_e32 v17, -0.5, v70
	v_add_f32_e32 v57, v42, v61
	v_sub_f32_e32 v61, v61, v58
	v_add_f32_e32 v20, v32, v50
	v_fma_f32 v42, -0.5, v59, v42
	v_fmac_f32_e32 v43, -0.5, v63
	v_fmamk_f32 v32, v33, 0xbf5db3d7, v24
	v_fmac_f32_e32 v24, 0x3f5db3d7, v33
	v_fmamk_f32 v33, v34, 0x3f5db3d7, v25
	v_fmac_f32_e32 v25, 0xbf5db3d7, v34
	v_add_f32_e32 v18, v26, v48
	v_add_f32_e32 v21, v45, v21
	v_fmamk_f32 v34, v44, 0xbf5db3d7, v38
	v_fmamk_f32 v35, v47, 0x3f5db3d7, v39
	;; [unrolled: 1-line block ×4, first 2 shown]
	v_add_f32_e32 v22, v49, v56
	v_add_f32_e32 v23, v53, v23
	v_fmac_f32_e32 v38, 0x3f5db3d7, v44
	v_fmac_f32_e32 v39, 0xbf5db3d7, v47
	;; [unrolled: 1-line block ×4, first 2 shown]
	v_fmamk_f32 v44, v68, 0xbf5db3d7, v16
	v_fmac_f32_e32 v16, 0x3f5db3d7, v68
	v_fmamk_f32 v45, v65, 0x3f5db3d7, v17
	v_fmac_f32_e32 v17, 0xbf5db3d7, v65
	v_add_f32_e32 v26, v57, v58
	v_add_f32_e32 v27, v60, v27
	;; [unrolled: 1-line block ×4, first 2 shown]
	v_fmamk_f32 v40, v62, 0xbf5db3d7, v42
	v_fmac_f32_e32 v42, 0x3f5db3d7, v62
	v_fmamk_f32 v41, v61, 0x3f5db3d7, v43
	v_fmac_f32_e32 v43, 0xbf5db3d7, v61
	ds_write_b64 v128, v[32:33] offset:1080
	ds_write_b64 v128, v[24:25] offset:2160
	ds_write2_b64 v128, v[18:19], v[20:21] offset1:27
	ds_write2_b64 v128, v[34:35], v[36:37] offset0:162 offset1:189
	ds_write2_b64 v129, v[38:39], v[28:29] offset0:41 offset1:68
	;; [unrolled: 1-line block ×3, first 2 shown]
	ds_write_b64 v128, v[42:43] offset:2808
	ds_write_b64 v128, v[30:31] offset:864
	ds_write2_b64 v128, v[40:41], v[44:45] offset0:216 offset1:243
	ds_write_b64 v128, v[16:17] offset:3024
	s_waitcnt lgkmcnt(0)
	s_barrier
	buffer_gl0_inv
	ds_read2_b64 v[16:19], v128 offset1:27
	ds_read2_b64 v[20:23], v128 offset0:54 offset1:81
	ds_read2_b64 v[24:27], v128 offset0:162 offset1:189
	;; [unrolled: 1-line block ×6, first 2 shown]
	ds_read_b64 v[48:49], v128 offset:3024
	v_add_nc_u32_e32 v15, s4, v15
	v_add_co_u32 v44, vcc_lo, v14, s2
	v_add_co_ci_u32_e32 v45, vcc_lo, s3, v15, vcc_lo
	v_add_co_u32 v46, vcc_lo, v44, s2
	v_add_co_ci_u32_e32 v47, vcc_lo, s3, v45, vcc_lo
	s_waitcnt lgkmcnt(7)
	v_mul_f32_e32 v50, v101, v17
	v_mul_f32_e32 v51, v101, v16
	s_waitcnt lgkmcnt(6)
	v_mul_f32_e32 v52, v93, v23
	v_mul_f32_e32 v53, v93, v22
	;; [unrolled: 3-line block ×5, first 2 shown]
	v_mul_f32_e32 v54, v99, v19
	v_mul_f32_e32 v55, v99, v18
	v_fmac_f32_e32 v50, v100, v16
	v_fma_f32 v51, v100, v17, -v51
	s_waitcnt lgkmcnt(2)
	v_mul_f32_e32 v64, v105, v37
	v_mul_f32_e32 v65, v105, v36
	s_waitcnt lgkmcnt(1)
	v_mul_f32_e32 v67, v115, v40
	v_mul_f32_e32 v70, v109, v21
	;; [unrolled: 1-line block ×3, first 2 shown]
	v_fmac_f32_e32 v52, v92, v22
	v_fma_f32 v22, v92, v23, -v53
	v_mul_f32_e32 v62, v107, v27
	v_mul_f32_e32 v63, v107, v26
	v_fmac_f32_e32 v56, v94, v24
	v_fma_f32 v57, v94, v25, -v57
	v_mul_f32_e32 v66, v115, v41
	v_mul_f32_e32 v74, v113, v29
	;; [unrolled: 1-line block ×3, first 2 shown]
	v_fmac_f32_e32 v58, v96, v30
	v_fma_f32 v30, v96, v31, -v59
	v_mul_f32_e32 v68, v117, v35
	v_mul_f32_e32 v69, v117, v34
	v_fmac_f32_e32 v60, v102, v32
	v_fma_f32 v53, v102, v33, -v61
	v_mul_f32_e32 v72, v111, v39
	v_mul_f32_e32 v73, v111, v38
	v_fmac_f32_e32 v54, v98, v18
	v_fma_f32 v55, v98, v19, -v55
	v_cvt_f64_f32_e32 v[16:17], v50
	v_cvt_f64_f32_e32 v[18:19], v51
	v_mul_f32_e32 v76, v119, v43
	v_mul_f32_e32 v77, v119, v42
	v_fmac_f32_e32 v64, v104, v36
	v_fma_f32 v59, v104, v37, -v65
	v_fma_f32 v61, v114, v41, -v67
	v_fmac_f32_e32 v70, v108, v20
	v_fma_f32 v67, v108, v21, -v71
	v_cvt_f64_f32_e32 v[20:21], v52
	v_cvt_f64_f32_e32 v[22:23], v22
	s_waitcnt lgkmcnt(0)
	v_mul_f32_e32 v78, v121, v49
	v_mul_f32_e32 v79, v121, v48
	v_fmac_f32_e32 v62, v106, v26
	v_fma_f32 v63, v106, v27, -v63
	v_cvt_f64_f32_e32 v[24:25], v56
	v_cvt_f64_f32_e32 v[26:27], v57
	v_fmac_f32_e32 v66, v114, v40
	v_fmac_f32_e32 v74, v112, v28
	v_fma_f32 v71, v112, v29, -v75
	v_cvt_f64_f32_e32 v[28:29], v58
	v_cvt_f64_f32_e32 v[30:31], v30
	v_fmac_f32_e32 v68, v116, v34
	v_fma_f32 v65, v116, v35, -v69
	v_cvt_f64_f32_e32 v[32:33], v60
	v_cvt_f64_f32_e32 v[34:35], v53
	;; [unrolled: 4-line block ×5, first 2 shown]
	v_cvt_f64_f32_e32 v[52:53], v66
	v_cvt_f64_f32_e32 v[54:55], v61
	v_cvt_f64_f32_e32 v[56:57], v68
	v_cvt_f64_f32_e32 v[58:59], v65
	v_cvt_f64_f32_e32 v[60:61], v70
	v_cvt_f64_f32_e32 v[62:63], v67
	v_cvt_f64_f32_e32 v[64:65], v72
	v_cvt_f64_f32_e32 v[66:67], v69
	v_cvt_f64_f32_e32 v[68:69], v74
	v_cvt_f64_f32_e32 v[70:71], v71
	v_cvt_f64_f32_e32 v[72:73], v76
	v_cvt_f64_f32_e32 v[74:75], v75
	v_cvt_f64_f32_e32 v[76:77], v78
	v_cvt_f64_f32_e32 v[78:79], v79
	v_mul_f64 v[16:17], v[16:17], s[0:1]
	v_mul_f64 v[18:19], v[18:19], s[0:1]
	;; [unrolled: 1-line block ×30, first 2 shown]
	v_cvt_f32_f64_e32 v16, v[16:17]
	v_cvt_f32_f64_e32 v17, v[18:19]
	;; [unrolled: 1-line block ×30, first 2 shown]
	v_add_co_u32 v50, vcc_lo, v46, s2
	v_add_co_ci_u32_e32 v51, vcc_lo, s3, v47, vcc_lo
	v_add_co_u32 v52, vcc_lo, v50, s2
	v_add_co_ci_u32_e32 v53, vcc_lo, s3, v51, vcc_lo
	global_store_dwordx2 v[80:81], v[16:17], off
	global_store_dwordx2 v[82:83], v[18:19], off
	;; [unrolled: 1-line block ×15, first 2 shown]
.LBB0_2:
	s_endpgm
	.section	.rodata,"a",@progbits
	.p2align	6, 0x0
	.amdhsa_kernel bluestein_single_fwd_len405_dim1_sp_op_CI_CI
		.amdhsa_group_segment_fixed_size 12960
		.amdhsa_private_segment_fixed_size 0
		.amdhsa_kernarg_size 104
		.amdhsa_user_sgpr_count 6
		.amdhsa_user_sgpr_private_segment_buffer 1
		.amdhsa_user_sgpr_dispatch_ptr 0
		.amdhsa_user_sgpr_queue_ptr 0
		.amdhsa_user_sgpr_kernarg_segment_ptr 1
		.amdhsa_user_sgpr_dispatch_id 0
		.amdhsa_user_sgpr_flat_scratch_init 0
		.amdhsa_user_sgpr_private_segment_size 0
		.amdhsa_wavefront_size32 1
		.amdhsa_uses_dynamic_stack 0
		.amdhsa_system_sgpr_private_segment_wavefront_offset 0
		.amdhsa_system_sgpr_workgroup_id_x 1
		.amdhsa_system_sgpr_workgroup_id_y 0
		.amdhsa_system_sgpr_workgroup_id_z 0
		.amdhsa_system_sgpr_workgroup_info 0
		.amdhsa_system_vgpr_workitem_id 0
		.amdhsa_next_free_vgpr 202
		.amdhsa_next_free_sgpr 20
		.amdhsa_reserve_vcc 1
		.amdhsa_reserve_flat_scratch 0
		.amdhsa_float_round_mode_32 0
		.amdhsa_float_round_mode_16_64 0
		.amdhsa_float_denorm_mode_32 3
		.amdhsa_float_denorm_mode_16_64 3
		.amdhsa_dx10_clamp 1
		.amdhsa_ieee_mode 1
		.amdhsa_fp16_overflow 0
		.amdhsa_workgroup_processor_mode 1
		.amdhsa_memory_ordered 1
		.amdhsa_forward_progress 0
		.amdhsa_shared_vgpr_count 0
		.amdhsa_exception_fp_ieee_invalid_op 0
		.amdhsa_exception_fp_denorm_src 0
		.amdhsa_exception_fp_ieee_div_zero 0
		.amdhsa_exception_fp_ieee_overflow 0
		.amdhsa_exception_fp_ieee_underflow 0
		.amdhsa_exception_fp_ieee_inexact 0
		.amdhsa_exception_int_div_zero 0
	.end_amdhsa_kernel
	.text
.Lfunc_end0:
	.size	bluestein_single_fwd_len405_dim1_sp_op_CI_CI, .Lfunc_end0-bluestein_single_fwd_len405_dim1_sp_op_CI_CI
                                        ; -- End function
	.section	.AMDGPU.csdata,"",@progbits
; Kernel info:
; codeLenInByte = 13056
; NumSgprs: 22
; NumVgprs: 202
; ScratchSize: 0
; MemoryBound: 0
; FloatMode: 240
; IeeeMode: 1
; LDSByteSize: 12960 bytes/workgroup (compile time only)
; SGPRBlocks: 2
; VGPRBlocks: 25
; NumSGPRsForWavesPerEU: 22
; NumVGPRsForWavesPerEU: 202
; Occupancy: 4
; WaveLimiterHint : 1
; COMPUTE_PGM_RSRC2:SCRATCH_EN: 0
; COMPUTE_PGM_RSRC2:USER_SGPR: 6
; COMPUTE_PGM_RSRC2:TRAP_HANDLER: 0
; COMPUTE_PGM_RSRC2:TGID_X_EN: 1
; COMPUTE_PGM_RSRC2:TGID_Y_EN: 0
; COMPUTE_PGM_RSRC2:TGID_Z_EN: 0
; COMPUTE_PGM_RSRC2:TIDIG_COMP_CNT: 0
	.text
	.p2alignl 6, 3214868480
	.fill 48, 4, 3214868480
	.type	__hip_cuid_c3a9dd6c2c749536,@object ; @__hip_cuid_c3a9dd6c2c749536
	.section	.bss,"aw",@nobits
	.globl	__hip_cuid_c3a9dd6c2c749536
__hip_cuid_c3a9dd6c2c749536:
	.byte	0                               ; 0x0
	.size	__hip_cuid_c3a9dd6c2c749536, 1

	.ident	"AMD clang version 19.0.0git (https://github.com/RadeonOpenCompute/llvm-project roc-6.4.0 25133 c7fe45cf4b819c5991fe208aaa96edf142730f1d)"
	.section	".note.GNU-stack","",@progbits
	.addrsig
	.addrsig_sym __hip_cuid_c3a9dd6c2c749536
	.amdgpu_metadata
---
amdhsa.kernels:
  - .args:
      - .actual_access:  read_only
        .address_space:  global
        .offset:         0
        .size:           8
        .value_kind:     global_buffer
      - .actual_access:  read_only
        .address_space:  global
        .offset:         8
        .size:           8
        .value_kind:     global_buffer
      - .actual_access:  read_only
        .address_space:  global
        .offset:         16
        .size:           8
        .value_kind:     global_buffer
      - .actual_access:  read_only
        .address_space:  global
        .offset:         24
        .size:           8
        .value_kind:     global_buffer
      - .actual_access:  read_only
        .address_space:  global
        .offset:         32
        .size:           8
        .value_kind:     global_buffer
      - .offset:         40
        .size:           8
        .value_kind:     by_value
      - .address_space:  global
        .offset:         48
        .size:           8
        .value_kind:     global_buffer
      - .address_space:  global
        .offset:         56
        .size:           8
        .value_kind:     global_buffer
      - .address_space:  global
        .offset:         64
        .size:           8
        .value_kind:     global_buffer
      - .address_space:  global
        .offset:         72
        .size:           8
        .value_kind:     global_buffer
      - .offset:         80
        .size:           4
        .value_kind:     by_value
      - .address_space:  global
        .offset:         88
        .size:           8
        .value_kind:     global_buffer
      - .address_space:  global
        .offset:         96
        .size:           8
        .value_kind:     global_buffer
    .group_segment_fixed_size: 12960
    .kernarg_segment_align: 8
    .kernarg_segment_size: 104
    .language:       OpenCL C
    .language_version:
      - 2
      - 0
    .max_flat_workgroup_size: 108
    .name:           bluestein_single_fwd_len405_dim1_sp_op_CI_CI
    .private_segment_fixed_size: 0
    .sgpr_count:     22
    .sgpr_spill_count: 0
    .symbol:         bluestein_single_fwd_len405_dim1_sp_op_CI_CI.kd
    .uniform_work_group_size: 1
    .uses_dynamic_stack: false
    .vgpr_count:     202
    .vgpr_spill_count: 0
    .wavefront_size: 32
    .workgroup_processor_mode: 1
amdhsa.target:   amdgcn-amd-amdhsa--gfx1030
amdhsa.version:
  - 1
  - 2
...

	.end_amdgpu_metadata
